;; amdgpu-corpus repo=ROCm/rocFFT kind=compiled arch=gfx906 opt=O3
	.text
	.amdgcn_target "amdgcn-amd-amdhsa--gfx906"
	.amdhsa_code_object_version 6
	.protected	fft_rtc_back_len408_factors_17_3_8_wgs_51_tpt_17_halfLds_dp_ip_CI_unitstride_sbrr_C2R_dirReg ; -- Begin function fft_rtc_back_len408_factors_17_3_8_wgs_51_tpt_17_halfLds_dp_ip_CI_unitstride_sbrr_C2R_dirReg
	.globl	fft_rtc_back_len408_factors_17_3_8_wgs_51_tpt_17_halfLds_dp_ip_CI_unitstride_sbrr_C2R_dirReg
	.p2align	8
	.type	fft_rtc_back_len408_factors_17_3_8_wgs_51_tpt_17_halfLds_dp_ip_CI_unitstride_sbrr_C2R_dirReg,@function
fft_rtc_back_len408_factors_17_3_8_wgs_51_tpt_17_halfLds_dp_ip_CI_unitstride_sbrr_C2R_dirReg: ; @fft_rtc_back_len408_factors_17_3_8_wgs_51_tpt_17_halfLds_dp_ip_CI_unitstride_sbrr_C2R_dirReg
; %bb.0:
	s_mov_b64 s[62:63], s[2:3]
	s_mov_b64 s[60:61], s[0:1]
	s_load_dwordx2 s[2:3], s[4:5], 0x50
	s_load_dwordx4 s[8:11], s[4:5], 0x0
	s_load_dwordx2 s[12:13], s[4:5], 0x18
	v_mul_u32_u24_e32 v1, 0xf10, v0
	v_lshrrev_b32_e32 v1, 16, v1
	v_mad_u64_u32 v[1:2], s[0:1], s6, 3, v[1:2]
	v_mov_b32_e32 v5, 0
	s_waitcnt lgkmcnt(0)
	v_cmp_lt_u64_e64 s[0:1], s[10:11], 2
	v_mov_b32_e32 v2, v5
	s_add_u32 s60, s60, s7
	v_mov_b32_e32 v3, 0
	v_mov_b32_e32 v10, v2
	s_addc_u32 s61, s61, 0
	s_and_b64 vcc, exec, s[0:1]
	v_mov_b32_e32 v4, 0
	v_mov_b32_e32 v9, v1
	s_cbranch_vccnz .LBB0_8
; %bb.1:
	s_load_dwordx2 s[0:1], s[4:5], 0x10
	s_add_u32 s6, s12, 8
	s_addc_u32 s7, s13, 0
	v_mov_b32_e32 v3, 0
	v_mov_b32_e32 v8, v2
	s_waitcnt lgkmcnt(0)
	s_add_u32 s16, s0, 8
	s_mov_b64 s[14:15], 1
	v_mov_b32_e32 v4, 0
	s_addc_u32 s17, s1, 0
	v_mov_b32_e32 v7, v1
.LBB0_2:                                ; =>This Inner Loop Header: Depth=1
	s_load_dwordx2 s[18:19], s[16:17], 0x0
                                        ; implicit-def: $vgpr9_vgpr10
	s_waitcnt lgkmcnt(0)
	v_or_b32_e32 v6, s19, v8
	v_cmp_ne_u64_e32 vcc, 0, v[5:6]
	s_and_saveexec_b64 s[0:1], vcc
	s_xor_b64 s[20:21], exec, s[0:1]
	s_cbranch_execz .LBB0_4
; %bb.3:                                ;   in Loop: Header=BB0_2 Depth=1
	v_cvt_f32_u32_e32 v2, s18
	v_cvt_f32_u32_e32 v6, s19
	s_sub_u32 s0, 0, s18
	s_subb_u32 s1, 0, s19
	v_mac_f32_e32 v2, 0x4f800000, v6
	v_rcp_f32_e32 v2, v2
	v_mul_f32_e32 v2, 0x5f7ffffc, v2
	v_mul_f32_e32 v6, 0x2f800000, v2
	v_trunc_f32_e32 v6, v6
	v_mac_f32_e32 v2, 0xcf800000, v6
	v_cvt_u32_f32_e32 v6, v6
	v_cvt_u32_f32_e32 v2, v2
	v_mul_lo_u32 v9, s0, v6
	v_mul_hi_u32 v10, s0, v2
	v_mul_lo_u32 v12, s1, v2
	v_mul_lo_u32 v11, s0, v2
	v_add_u32_e32 v9, v10, v9
	v_add_u32_e32 v9, v9, v12
	v_mul_hi_u32 v10, v2, v11
	v_mul_lo_u32 v12, v2, v9
	v_mul_hi_u32 v14, v2, v9
	v_mul_hi_u32 v13, v6, v11
	v_mul_lo_u32 v11, v6, v11
	v_mul_hi_u32 v15, v6, v9
	v_add_co_u32_e32 v10, vcc, v10, v12
	v_addc_co_u32_e32 v12, vcc, 0, v14, vcc
	v_mul_lo_u32 v9, v6, v9
	v_add_co_u32_e32 v10, vcc, v10, v11
	v_addc_co_u32_e32 v10, vcc, v12, v13, vcc
	v_addc_co_u32_e32 v11, vcc, 0, v15, vcc
	v_add_co_u32_e32 v9, vcc, v10, v9
	v_addc_co_u32_e32 v10, vcc, 0, v11, vcc
	v_add_co_u32_e32 v2, vcc, v2, v9
	v_addc_co_u32_e32 v6, vcc, v6, v10, vcc
	v_mul_lo_u32 v9, s0, v6
	v_mul_hi_u32 v10, s0, v2
	v_mul_lo_u32 v11, s1, v2
	v_mul_lo_u32 v12, s0, v2
	v_add_u32_e32 v9, v10, v9
	v_add_u32_e32 v9, v9, v11
	v_mul_lo_u32 v13, v2, v9
	v_mul_hi_u32 v14, v2, v12
	v_mul_hi_u32 v15, v2, v9
	;; [unrolled: 1-line block ×3, first 2 shown]
	v_mul_lo_u32 v12, v6, v12
	v_mul_hi_u32 v10, v6, v9
	v_add_co_u32_e32 v13, vcc, v14, v13
	v_addc_co_u32_e32 v14, vcc, 0, v15, vcc
	v_mul_lo_u32 v9, v6, v9
	v_add_co_u32_e32 v12, vcc, v13, v12
	v_addc_co_u32_e32 v11, vcc, v14, v11, vcc
	v_addc_co_u32_e32 v10, vcc, 0, v10, vcc
	v_add_co_u32_e32 v9, vcc, v11, v9
	v_addc_co_u32_e32 v10, vcc, 0, v10, vcc
	v_add_co_u32_e32 v2, vcc, v2, v9
	v_addc_co_u32_e32 v6, vcc, v6, v10, vcc
	v_mad_u64_u32 v[9:10], s[0:1], v7, v6, 0
	v_mul_hi_u32 v11, v7, v2
	v_add_co_u32_e32 v13, vcc, v11, v9
	v_addc_co_u32_e32 v14, vcc, 0, v10, vcc
	v_mad_u64_u32 v[9:10], s[0:1], v8, v2, 0
	v_mad_u64_u32 v[11:12], s[0:1], v8, v6, 0
	v_add_co_u32_e32 v2, vcc, v13, v9
	v_addc_co_u32_e32 v2, vcc, v14, v10, vcc
	v_addc_co_u32_e32 v6, vcc, 0, v12, vcc
	v_add_co_u32_e32 v2, vcc, v2, v11
	v_addc_co_u32_e32 v6, vcc, 0, v6, vcc
	v_mul_lo_u32 v11, s19, v2
	v_mul_lo_u32 v12, s18, v6
	v_mad_u64_u32 v[9:10], s[0:1], s18, v2, 0
	v_add3_u32 v10, v10, v12, v11
	v_sub_u32_e32 v11, v8, v10
	v_mov_b32_e32 v12, s19
	v_sub_co_u32_e32 v9, vcc, v7, v9
	v_subb_co_u32_e64 v11, s[0:1], v11, v12, vcc
	v_subrev_co_u32_e64 v12, s[0:1], s18, v9
	v_subbrev_co_u32_e64 v11, s[0:1], 0, v11, s[0:1]
	v_cmp_le_u32_e64 s[0:1], s19, v11
	v_cndmask_b32_e64 v13, 0, -1, s[0:1]
	v_cmp_le_u32_e64 s[0:1], s18, v12
	v_cndmask_b32_e64 v12, 0, -1, s[0:1]
	v_cmp_eq_u32_e64 s[0:1], s19, v11
	v_cndmask_b32_e64 v11, v13, v12, s[0:1]
	v_add_co_u32_e64 v12, s[0:1], 2, v2
	v_addc_co_u32_e64 v13, s[0:1], 0, v6, s[0:1]
	v_add_co_u32_e64 v14, s[0:1], 1, v2
	v_addc_co_u32_e64 v15, s[0:1], 0, v6, s[0:1]
	v_subb_co_u32_e32 v10, vcc, v8, v10, vcc
	v_cmp_ne_u32_e64 s[0:1], 0, v11
	v_cmp_le_u32_e32 vcc, s19, v10
	v_cndmask_b32_e64 v11, v15, v13, s[0:1]
	v_cndmask_b32_e64 v13, 0, -1, vcc
	v_cmp_le_u32_e32 vcc, s18, v9
	v_cndmask_b32_e64 v9, 0, -1, vcc
	v_cmp_eq_u32_e32 vcc, s19, v10
	v_cndmask_b32_e32 v9, v13, v9, vcc
	v_cmp_ne_u32_e32 vcc, 0, v9
	v_cndmask_b32_e32 v10, v6, v11, vcc
	v_cndmask_b32_e64 v6, v14, v12, s[0:1]
	v_cndmask_b32_e32 v9, v2, v6, vcc
.LBB0_4:                                ;   in Loop: Header=BB0_2 Depth=1
	s_andn2_saveexec_b64 s[0:1], s[20:21]
	s_cbranch_execz .LBB0_6
; %bb.5:                                ;   in Loop: Header=BB0_2 Depth=1
	v_cvt_f32_u32_e32 v2, s18
	s_sub_i32 s20, 0, s18
	v_rcp_iflag_f32_e32 v2, v2
	v_mul_f32_e32 v2, 0x4f7ffffe, v2
	v_cvt_u32_f32_e32 v2, v2
	v_mul_lo_u32 v6, s20, v2
	v_mul_hi_u32 v6, v2, v6
	v_add_u32_e32 v2, v2, v6
	v_mul_hi_u32 v2, v7, v2
	v_mul_lo_u32 v6, v2, s18
	v_add_u32_e32 v9, 1, v2
	v_sub_u32_e32 v6, v7, v6
	v_subrev_u32_e32 v10, s18, v6
	v_cmp_le_u32_e32 vcc, s18, v6
	v_cndmask_b32_e32 v6, v6, v10, vcc
	v_cndmask_b32_e32 v2, v2, v9, vcc
	v_add_u32_e32 v9, 1, v2
	v_cmp_le_u32_e32 vcc, s18, v6
	v_cndmask_b32_e32 v9, v2, v9, vcc
	v_mov_b32_e32 v10, v5
.LBB0_6:                                ;   in Loop: Header=BB0_2 Depth=1
	s_or_b64 exec, exec, s[0:1]
	v_mul_lo_u32 v2, v10, s18
	v_mul_lo_u32 v6, v9, s19
	v_mad_u64_u32 v[11:12], s[0:1], v9, s18, 0
	s_load_dwordx2 s[0:1], s[6:7], 0x0
	s_add_u32 s14, s14, 1
	v_add3_u32 v2, v12, v6, v2
	v_sub_co_u32_e32 v6, vcc, v7, v11
	v_subb_co_u32_e32 v2, vcc, v8, v2, vcc
	s_waitcnt lgkmcnt(0)
	v_mul_lo_u32 v2, s0, v2
	v_mul_lo_u32 v7, s1, v6
	v_mad_u64_u32 v[3:4], s[0:1], s0, v6, v[3:4]
	s_addc_u32 s15, s15, 0
	s_add_u32 s6, s6, 8
	v_add3_u32 v4, v7, v4, v2
	v_mov_b32_e32 v6, s10
	v_mov_b32_e32 v7, s11
	s_addc_u32 s7, s7, 0
	v_cmp_ge_u64_e32 vcc, s[14:15], v[6:7]
	s_add_u32 s16, s16, 8
	s_addc_u32 s17, s17, 0
	s_cbranch_vccnz .LBB0_8
; %bb.7:                                ;   in Loop: Header=BB0_2 Depth=1
	v_mov_b32_e32 v7, v9
	v_mov_b32_e32 v8, v10
	s_branch .LBB0_2
.LBB0_8:
	s_lshl_b64 s[0:1], s[10:11], 3
	s_add_u32 s0, s12, s0
	s_addc_u32 s1, s13, s1
	s_load_dwordx2 s[0:1], s[0:1], 0x0
	s_mov_b32 s6, 0xaaaaaaab
	v_mul_hi_u32 v5, v1, s6
	s_waitcnt lgkmcnt(0)
	v_mul_lo_u32 v6, s0, v10
	v_mul_lo_u32 v7, s1, v9
	v_mad_u64_u32 v[2:3], s[0:1], s0, v9, v[3:4]
	s_load_dwordx2 s[0:1], s[4:5], 0x20
	s_mov_b32 s4, 0xf0f0f10
	v_lshrrev_b32_e32 v4, 1, v5
	v_mul_hi_u32 v5, v0, s4
	v_lshl_add_u32 v4, v4, 1, v4
	v_add3_u32 v3, v7, v3, v6
	v_sub_u32_e32 v1, v1, v4
	v_mul_u32_u24_e32 v1, 0x199, v1
	s_waitcnt lgkmcnt(0)
	v_cmp_gt_u64_e64 s[0:1], s[0:1], v[9:10]
	v_mul_u32_u24_e32 v4, 17, v5
	v_lshlrev_b64 v[2:3], 4, v[2:3]
	v_sub_u32_e32 v104, v0, v4
	v_lshlrev_b32_e32 v174, 4, v1
	buffer_store_dword v2, off, s[60:63], 0 ; 4-byte Folded Spill
	s_nop 0
	buffer_store_dword v3, off, s[60:63], 0 offset:4 ; 4-byte Folded Spill
	s_and_saveexec_b64 s[4:5], s[0:1]
	s_cbranch_execz .LBB0_12
; %bb.9:
	buffer_load_dword v2, off, s[60:63], 0  ; 4-byte Folded Reload
	buffer_load_dword v3, off, s[60:63], 0 offset:4 ; 4-byte Folded Reload
	v_mov_b32_e32 v105, 0
	v_mov_b32_e32 v0, s3
	s_movk_i32 s6, 0x1000
	s_waitcnt vmcnt(1)
	v_add_co_u32_e32 v2, vcc, s2, v2
	s_waitcnt vmcnt(0)
	v_addc_co_u32_e32 v0, vcc, v0, v3, vcc
	v_lshlrev_b64 v[3:4], 4, v[104:105]
	v_add_co_u32_e32 v68, vcc, v2, v3
	v_addc_co_u32_e32 v69, vcc, v0, v4, vcc
	v_add_co_u32_e32 v100, vcc, s6, v68
	v_addc_co_u32_e32 v101, vcc, 0, v69, vcc
	global_load_dwordx4 v[4:7], v[68:69], off
	global_load_dwordx4 v[8:11], v[68:69], off offset:272
	global_load_dwordx4 v[12:15], v[68:69], off offset:544
	global_load_dwordx4 v[16:19], v[68:69], off offset:816
	global_load_dwordx4 v[20:23], v[68:69], off offset:1088
	global_load_dwordx4 v[24:27], v[68:69], off offset:1360
	global_load_dwordx4 v[28:31], v[68:69], off offset:1632
	global_load_dwordx4 v[32:35], v[68:69], off offset:1904
	global_load_dwordx4 v[36:39], v[68:69], off offset:2176
	global_load_dwordx4 v[40:43], v[68:69], off offset:2448
	global_load_dwordx4 v[44:47], v[68:69], off offset:2720
	global_load_dwordx4 v[48:51], v[68:69], off offset:2992
	global_load_dwordx4 v[52:55], v[68:69], off offset:3264
	global_load_dwordx4 v[56:59], v[68:69], off offset:3536
	global_load_dwordx4 v[60:63], v[68:69], off offset:3808
	global_load_dwordx4 v[64:67], v[68:69], off offset:4080
	s_nop 0
	global_load_dwordx4 v[68:71], v[100:101], off offset:256
	global_load_dwordx4 v[72:75], v[100:101], off offset:528
	;; [unrolled: 1-line block ×8, first 2 shown]
	v_lshlrev_b32_e32 v3, 4, v104
	v_add3_u32 v3, 0, v174, v3
	v_cmp_eq_u32_e32 vcc, 16, v104
	s_waitcnt vmcnt(23)
	ds_write_b128 v3, v[4:7]
	s_waitcnt vmcnt(22)
	ds_write_b128 v3, v[8:11] offset:272
	s_waitcnt vmcnt(21)
	ds_write_b128 v3, v[12:15] offset:544
	;; [unrolled: 2-line block ×23, first 2 shown]
	s_and_saveexec_b64 s[6:7], vcc
	s_cbranch_execz .LBB0_11
; %bb.10:
	v_add_co_u32_e32 v4, vcc, 0x1000, v2
	v_addc_co_u32_e32 v5, vcc, 0, v0, vcc
	global_load_dwordx4 v[4:7], v[4:5], off offset:2432
	v_mov_b32_e32 v104, 16
	s_waitcnt vmcnt(0)
	ds_write_b128 v3, v[4:7] offset:6272
.LBB0_11:
	s_or_b64 exec, exec, s[6:7]
.LBB0_12:
	s_or_b64 exec, exec, s[4:5]
	v_lshl_add_u32 v172, v1, 4, 0
	v_lshlrev_b32_e32 v0, 4, v104
	v_add_u32_e32 v173, v172, v0
	s_waitcnt lgkmcnt(0)
	; wave barrier
	s_waitcnt lgkmcnt(0)
	v_sub_u32_e32 v22, v172, v0
	ds_read_b64 v[6:7], v173
	ds_read_b64 v[8:9], v22 offset:6528
	s_add_u32 s6, s8, 0x1870
	s_addc_u32 s7, s9, 0
	v_cmp_ne_u32_e32 vcc, 0, v104
                                        ; implicit-def: $vgpr4_vgpr5
	s_waitcnt lgkmcnt(0)
	v_add_f64 v[0:1], v[6:7], v[8:9]
	v_add_f64 v[2:3], v[6:7], -v[8:9]
	s_and_saveexec_b64 s[4:5], vcc
	s_xor_b64 s[4:5], exec, s[4:5]
	s_cbranch_execz .LBB0_14
; %bb.13:
	v_mov_b32_e32 v105, 0
	v_lshlrev_b64 v[0:1], 4, v[104:105]
	v_mov_b32_e32 v2, s7
	v_add_co_u32_e32 v0, vcc, s6, v0
	v_addc_co_u32_e32 v1, vcc, v2, v1, vcc
	global_load_dwordx4 v[2:5], v[0:1], off
	ds_read_b64 v[0:1], v22 offset:6536
	ds_read_b64 v[10:11], v173 offset:8
	v_add_f64 v[12:13], v[6:7], v[8:9]
	v_add_f64 v[8:9], v[6:7], -v[8:9]
	s_waitcnt lgkmcnt(0)
	v_add_f64 v[14:15], v[0:1], v[10:11]
	v_add_f64 v[0:1], v[10:11], -v[0:1]
	s_waitcnt vmcnt(0)
	v_fma_f64 v[6:7], -v[8:9], v[4:5], v[12:13]
	v_fma_f64 v[10:11], v[14:15], v[4:5], -v[0:1]
	v_fma_f64 v[12:13], v[8:9], v[4:5], v[12:13]
	v_fma_f64 v[16:17], v[14:15], v[4:5], v[0:1]
	;; [unrolled: 1-line block ×4, first 2 shown]
	v_fma_f64 v[0:1], -v[14:15], v[2:3], v[12:13]
	v_fma_f64 v[2:3], v[8:9], v[2:3], v[16:17]
	ds_write_b128 v22, v[4:7] offset:6528
	v_mov_b32_e32 v4, v104
	v_mov_b32_e32 v5, v105
.LBB0_14:
	s_andn2_saveexec_b64 s[4:5], s[4:5]
	s_cbranch_execz .LBB0_16
; %bb.15:
	ds_read_b128 v[4:7], v172 offset:3264
	s_waitcnt lgkmcnt(0)
	v_add_f64 v[8:9], v[4:5], v[4:5]
	v_mul_f64 v[10:11], v[6:7], -2.0
	v_mov_b32_e32 v4, 0
	v_mov_b32_e32 v5, 0
	ds_write_b128 v172, v[8:11] offset:3264
.LBB0_16:
	s_or_b64 exec, exec, s[4:5]
	v_lshlrev_b64 v[4:5], 4, v[4:5]
	v_mov_b32_e32 v6, s7
	v_add_co_u32_e32 v8, vcc, s6, v4
	v_addc_co_u32_e32 v9, vcc, v6, v5, vcc
	global_load_dwordx4 v[4:7], v[8:9], off offset:272
	global_load_dwordx4 v[10:13], v[8:9], off offset:544
	ds_write_b128 v173, v[0:3]
	ds_read_b128 v[0:3], v173 offset:272
	ds_read_b128 v[14:17], v22 offset:6256
	global_load_dwordx4 v[18:21], v[8:9], off offset:816
	s_mov_b32 s14, 0x5d8e7cdc
	s_mov_b32 s12, 0x370991
	;; [unrolled: 1-line block ×3, first 2 shown]
	s_waitcnt lgkmcnt(0)
	v_add_f64 v[23:24], v[0:1], v[14:15]
	v_add_f64 v[25:26], v[16:17], v[2:3]
	v_add_f64 v[27:28], v[0:1], -v[14:15]
	v_add_f64 v[0:1], v[2:3], -v[16:17]
	s_mov_b32 s6, 0x75d4884
	s_mov_b32 s26, 0x7c9e640b
	;; [unrolled: 1-line block ×45, first 2 shown]
	v_cmp_gt_u32_e32 vcc, 7, v104
	s_waitcnt vmcnt(2)
	v_fma_f64 v[2:3], v[27:28], v[6:7], v[23:24]
	v_fma_f64 v[14:15], v[25:26], v[6:7], v[0:1]
	v_fma_f64 v[16:17], -v[27:28], v[6:7], v[23:24]
	v_fma_f64 v[6:7], v[25:26], v[6:7], -v[0:1]
	v_fma_f64 v[0:1], -v[25:26], v[4:5], v[2:3]
	v_fma_f64 v[2:3], v[27:28], v[4:5], v[14:15]
	v_fma_f64 v[14:15], v[25:26], v[4:5], v[16:17]
	v_fma_f64 v[16:17], v[27:28], v[4:5], v[6:7]
	ds_write_b128 v173, v[0:3] offset:272
	ds_write_b128 v22, v[14:17] offset:6256
	ds_read_b128 v[0:3], v173 offset:544
	ds_read_b128 v[4:7], v22 offset:5984
	global_load_dwordx4 v[14:17], v[8:9], off offset:1088
	s_waitcnt lgkmcnt(0)
	v_add_f64 v[23:24], v[0:1], v[4:5]
	v_add_f64 v[25:26], v[6:7], v[2:3]
	v_add_f64 v[27:28], v[0:1], -v[4:5]
	v_add_f64 v[0:1], v[2:3], -v[6:7]
	s_waitcnt vmcnt(2)
	v_fma_f64 v[2:3], v[27:28], v[12:13], v[23:24]
	v_fma_f64 v[4:5], v[25:26], v[12:13], v[0:1]
	v_fma_f64 v[6:7], -v[27:28], v[12:13], v[23:24]
	v_fma_f64 v[12:13], v[25:26], v[12:13], -v[0:1]
	v_fma_f64 v[0:1], -v[25:26], v[10:11], v[2:3]
	v_fma_f64 v[2:3], v[27:28], v[10:11], v[4:5]
	v_fma_f64 v[4:5], v[25:26], v[10:11], v[6:7]
	v_fma_f64 v[6:7], v[27:28], v[10:11], v[12:13]
	ds_write_b128 v173, v[0:3] offset:544
	ds_write_b128 v22, v[4:7] offset:5984
	ds_read_b128 v[0:3], v173 offset:816
	ds_read_b128 v[4:7], v22 offset:5712
	global_load_dwordx4 v[10:13], v[8:9], off offset:1360
	s_waitcnt lgkmcnt(0)
	v_add_f64 v[23:24], v[0:1], v[4:5]
	v_add_f64 v[25:26], v[6:7], v[2:3]
	v_add_f64 v[27:28], v[0:1], -v[4:5]
	v_add_f64 v[0:1], v[2:3], -v[6:7]
	;; [unrolled: 19-line block ×7, first 2 shown]
	s_waitcnt vmcnt(2)
	v_fma_f64 v[16:17], v[18:19], v[12:13], v[23:24]
	v_fma_f64 v[20:21], v[25:26], v[12:13], v[14:15]
	v_fma_f64 v[23:24], -v[18:19], v[12:13], v[23:24]
	v_fma_f64 v[27:28], v[25:26], v[12:13], -v[14:15]
	v_fma_f64 v[12:13], -v[25:26], v[10:11], v[16:17]
	v_fma_f64 v[14:15], v[18:19], v[10:11], v[20:21]
	v_fma_f64 v[16:17], v[25:26], v[10:11], v[23:24]
	;; [unrolled: 1-line block ×3, first 2 shown]
	v_xor_b32_e32 v10, 0xff, v104
	ds_write_b128 v173, v[12:15] offset:2176
	ds_write_b128 v22, v[16:19] offset:4352
	v_lshl_add_u32 v23, v10, 4, v172
	ds_read_b128 v[14:17], v173 offset:2448
	ds_read_b128 v[18:21], v23
	global_load_dwordx4 v[8:11], v[8:9], off offset:2992
	s_waitcnt lgkmcnt(0)
	v_add_f64 v[24:25], v[14:15], v[18:19]
	v_add_f64 v[12:13], v[20:21], v[16:17]
	v_add_f64 v[14:15], v[14:15], -v[18:19]
	v_add_f64 v[26:27], v[16:17], -v[20:21]
	s_waitcnt vmcnt(2)
	v_fma_f64 v[16:17], v[14:15], v[2:3], v[24:25]
	v_fma_f64 v[18:19], v[12:13], v[2:3], v[26:27]
	v_fma_f64 v[20:21], -v[14:15], v[2:3], v[24:25]
	v_fma_f64 v[2:3], v[12:13], v[2:3], -v[26:27]
	v_lshl_add_u32 v24, v104, 4, 0
	v_add_u32_e32 v105, v24, v174
	v_fma_f64 v[16:17], -v[12:13], v[0:1], v[16:17]
	v_fma_f64 v[18:19], v[14:15], v[0:1], v[18:19]
	v_fma_f64 v[12:13], v[12:13], v[0:1], v[20:21]
	v_fma_f64 v[14:15], v[14:15], v[0:1], v[2:3]
	ds_write_b128 v173, v[16:19] offset:2448
	ds_write_b128 v23, v[12:15]
	ds_read_b128 v[0:3], v173 offset:2720
	ds_read_b128 v[12:15], v22 offset:3808
	s_waitcnt lgkmcnt(0)
	v_add_f64 v[16:17], v[0:1], v[12:13]
	v_add_f64 v[18:19], v[14:15], v[2:3]
	v_add_f64 v[20:21], v[0:1], -v[12:13]
	v_add_f64 v[0:1], v[2:3], -v[14:15]
	s_waitcnt vmcnt(1)
	v_fma_f64 v[2:3], v[20:21], v[6:7], v[16:17]
	v_fma_f64 v[12:13], v[18:19], v[6:7], v[0:1]
	v_fma_f64 v[14:15], -v[20:21], v[6:7], v[16:17]
	v_fma_f64 v[6:7], v[18:19], v[6:7], -v[0:1]
	v_fma_f64 v[0:1], -v[18:19], v[4:5], v[2:3]
	v_fma_f64 v[2:3], v[20:21], v[4:5], v[12:13]
	v_fma_f64 v[12:13], v[18:19], v[4:5], v[14:15]
	;; [unrolled: 1-line block ×3, first 2 shown]
	ds_write_b128 v173, v[0:3] offset:2720
	ds_write_b128 v22, v[12:15] offset:3808
	ds_read_b128 v[0:3], v173 offset:2992
	ds_read_b128 v[4:7], v22 offset:3536
	s_waitcnt lgkmcnt(0)
	v_add_f64 v[12:13], v[0:1], v[4:5]
	v_add_f64 v[14:15], v[6:7], v[2:3]
	v_add_f64 v[16:17], v[0:1], -v[4:5]
	v_add_f64 v[0:1], v[2:3], -v[6:7]
	s_waitcnt vmcnt(0)
	v_fma_f64 v[2:3], v[16:17], v[10:11], v[12:13]
	v_fma_f64 v[4:5], v[14:15], v[10:11], v[0:1]
	v_fma_f64 v[6:7], -v[16:17], v[10:11], v[12:13]
	v_fma_f64 v[10:11], v[14:15], v[10:11], -v[0:1]
	v_fma_f64 v[0:1], -v[14:15], v[8:9], v[2:3]
	v_fma_f64 v[2:3], v[16:17], v[8:9], v[4:5]
	v_fma_f64 v[4:5], v[14:15], v[8:9], v[6:7]
	;; [unrolled: 1-line block ×3, first 2 shown]
	ds_write_b128 v173, v[0:3] offset:2992
	ds_write_b128 v22, v[4:7] offset:3536
	s_waitcnt lgkmcnt(0)
	; wave barrier
	s_waitcnt lgkmcnt(0)
	s_waitcnt lgkmcnt(0)
	; wave barrier
	s_waitcnt lgkmcnt(0)
	ds_read_b128 v[68:71], v173
	ds_read_b128 v[0:3], v105 offset:272
	ds_read_b128 v[132:135], v105 offset:384
	;; [unrolled: 1-line block ×31, first 2 shown]
	s_waitcnt lgkmcnt(14)
	v_add_f64 v[130:131], v[68:69], v[132:133]
	v_add_f64 v[199:200], v[70:71], v[134:135]
	s_waitcnt lgkmcnt(3)
	v_add_f64 v[114:115], v[140:141], v[187:188]
	s_waitcnt lgkmcnt(1)
	v_add_f64 v[120:121], v[136:137], v[191:192]
	v_add_f64 v[122:123], v[136:137], -v[191:192]
	v_add_f64 v[112:113], v[140:141], -v[187:188]
	s_waitcnt lgkmcnt(0)
	buffer_store_dword v4, off, s[60:63], 0 offset:24 ; 4-byte Folded Spill
	s_nop 0
	buffer_store_dword v5, off, s[60:63], 0 offset:28 ; 4-byte Folded Spill
	buffer_store_dword v6, off, s[60:63], 0 offset:32 ; 4-byte Folded Spill
	;; [unrolled: 1-line block ×3, first 2 shown]
	ds_read_b128 v[195:198], v105 offset:6144
	ds_read_b128 v[4:7], v105 offset:6416
	v_add_f64 v[136:137], v[130:131], v[136:137]
	v_add_f64 v[199:200], v[199:200], v[138:139]
	;; [unrolled: 1-line block ×3, first 2 shown]
	s_waitcnt lgkmcnt(1)
	v_add_f64 v[201:202], v[134:135], -v[197:198]
	v_add_f64 v[134:135], v[134:135], v[197:198]
	v_add_f64 v[92:93], v[148:149], -v[179:180]
	v_add_f64 v[102:103], v[144:145], v[183:184]
	v_add_f64 v[116:117], v[146:147], v[185:186]
	;; [unrolled: 1-line block ×4, first 2 shown]
	v_add_f64 v[100:101], v[144:145], -v[183:184]
	v_add_f64 v[118:119], v[146:147], -v[185:186]
	v_add_f64 v[124:125], v[142:143], v[189:190]
	v_add_f64 v[126:127], v[142:143], -v[189:190]
	v_add_f64 v[128:129], v[138:139], v[193:194]
	;; [unrolled: 2-line block ×3, first 2 shown]
	v_add_f64 v[140:141], v[140:141], v[146:147]
	v_add_f64 v[138:139], v[132:133], v[195:196]
	v_add_f64 v[132:133], v[132:133], -v[195:196]
	v_mul_f64 v[203:204], v[201:202], s[14:15]
	v_mul_f64 v[205:206], v[201:202], s[20:21]
	;; [unrolled: 1-line block ×4, first 2 shown]
	v_add_f64 v[136:137], v[136:137], v[148:149]
	v_add_f64 v[140:141], v[140:141], v[150:151]
	v_mul_f64 v[207:208], v[201:202], s[30:31]
	v_mul_f64 v[209:210], v[201:202], s[34:35]
	;; [unrolled: 1-line block ×6, first 2 shown]
	v_add_f64 v[136:137], v[136:137], v[152:153]
	v_add_f64 v[140:141], v[140:141], v[154:155]
	v_mul_f64 v[213:214], v[134:135], s[4:5]
	v_mul_f64 v[215:216], v[134:135], s[10:11]
	;; [unrolled: 1-line block ×6, first 2 shown]
	v_add_f64 v[136:137], v[136:137], v[156:157]
	v_add_f64 v[140:141], v[140:141], v[158:159]
	;; [unrolled: 1-line block ×4, first 2 shown]
	v_add_f64 v[74:75], v[160:161], -v[164:165]
	v_add_f64 v[80:81], v[162:163], -v[166:167]
	v_add_f64 v[82:83], v[156:157], v[168:169]
	v_add_f64 v[84:85], v[158:159], v[170:171]
	;; [unrolled: 1-line block ×4, first 2 shown]
	v_add_f64 v[78:79], v[156:157], -v[168:169]
	v_add_f64 v[90:91], v[158:159], -v[170:171]
	v_add_f64 v[88:89], v[152:153], v[175:176]
	v_add_f64 v[94:95], v[154:155], v[177:178]
	v_add_f64 v[86:87], v[152:153], -v[175:176]
	v_add_f64 v[98:99], v[154:155], -v[177:178]
	v_add_f64 v[136:137], v[136:137], v[164:165]
	v_add_f64 v[140:141], v[140:141], v[166:167]
	;; [unrolled: 1-line block ×3, first 2 shown]
	v_add_f64 v[110:111], v[150:151], -v[181:182]
	v_mul_f64 v[150:151], v[130:131], s[20:21]
	v_mul_f64 v[221:222], v[128:129], s[6:7]
	v_fma_f64 v[243:244], v[138:139], s[12:13], v[203:204]
	v_fma_f64 v[203:204], v[138:139], s[12:13], -v[203:204]
	v_add_f64 v[136:137], v[136:137], v[168:169]
	v_add_f64 v[140:141], v[140:141], v[170:171]
	v_fma_f64 v[245:246], v[138:139], s[6:7], v[205:206]
	v_fma_f64 v[205:206], v[138:139], s[6:7], -v[205:206]
	v_fma_f64 v[164:165], v[138:139], s[4:5], v[142:143]
	v_fma_f64 v[142:143], v[138:139], s[4:5], -v[142:143]
	;; [unrolled: 2-line block ×3, first 2 shown]
	v_add_f64 v[136:137], v[136:137], v[175:176]
	v_add_f64 v[140:141], v[140:141], v[177:178]
	v_fma_f64 v[247:248], v[138:139], s[16:17], v[207:208]
	v_fma_f64 v[207:208], v[138:139], s[16:17], -v[207:208]
	v_fma_f64 v[168:169], v[138:139], s[24:25], v[209:210]
	v_fma_f64 v[170:171], v[138:139], s[24:25], -v[209:210]
	;; [unrolled: 2-line block ×3, first 2 shown]
	v_add_f64 v[136:137], v[136:137], v[179:180]
	v_add_f64 v[140:141], v[140:141], v[181:182]
	v_fma_f64 v[249:250], v[138:139], s[18:19], v[201:202]
	v_fma_f64 v[138:139], v[138:139], s[18:19], -v[201:202]
	v_fma_f64 v[175:176], v[132:133], s[40:41], v[144:145]
	v_fma_f64 v[144:145], v[132:133], s[14:15], v[144:145]
	;; [unrolled: 1-line block ×12, first 2 shown]
	v_add_f64 v[136:137], v[136:137], v[183:184]
	v_add_f64 v[140:141], v[140:141], v[185:186]
	v_fma_f64 v[183:184], v[132:133], s[46:47], v[148:149]
	v_fma_f64 v[148:149], v[132:133], s[36:37], v[148:149]
	;; [unrolled: 1-line block ×4, first 2 shown]
	s_waitcnt lgkmcnt(0)
	buffer_store_dword v4, off, s[60:63], 0 offset:8 ; 4-byte Folded Spill
	s_nop 0
	buffer_store_dword v5, off, s[60:63], 0 offset:12 ; 4-byte Folded Spill
	buffer_store_dword v6, off, s[60:63], 0 offset:16 ; 4-byte Folded Spill
	;; [unrolled: 1-line block ×3, first 2 shown]
	v_mul_f64 v[223:224], v[126:127], s[26:27]
	v_mul_f64 v[225:226], v[124:125], s[4:5]
	v_mul_f64 v[239:240], v[130:131], s[28:29]
	v_add_f64 v[134:135], v[68:69], v[243:244]
	v_add_f64 v[175:176], v[70:71], v[175:176]
	;; [unrolled: 1-line block ×32, first 2 shown]
	v_fma_f64 v[10:11], v[120:121], s[6:7], v[150:151]
	v_fma_f64 v[68:69], v[122:123], s[48:49], v[221:222]
	v_fma_f64 v[70:71], v[120:121], s[6:7], -v[150:151]
	v_fma_f64 v[138:139], v[122:123], s[20:21], v[221:222]
	v_mul_f64 v[152:153], v[118:119], s[28:29]
	v_mul_f64 v[154:155], v[116:117], s[10:11]
	;; [unrolled: 1-line block ×3, first 2 shown]
	v_add_f64 v[132:133], v[136:137], v[187:188]
	v_fma_f64 v[142:143], v[120:121], s[10:11], v[239:240]
	v_add_f64 v[10:11], v[10:11], v[134:135]
	v_add_f64 v[68:69], v[68:69], v[175:176]
	;; [unrolled: 1-line block ×3, first 2 shown]
	v_fma_f64 v[150:151], v[114:115], s[4:5], v[223:224]
	v_add_f64 v[138:139], v[138:139], v[144:145]
	v_fma_f64 v[144:145], v[112:113], s[42:43], v[225:226]
	v_fma_f64 v[175:176], v[114:115], s[4:5], -v[223:224]
	v_fma_f64 v[187:188], v[112:113], s[26:27], v[225:226]
	v_mul_f64 v[227:228], v[110:111], s[30:31]
	v_mul_f64 v[229:230], v[108:109], s[16:17]
	;; [unrolled: 1-line block ×3, first 2 shown]
	v_add_f64 v[142:143], v[142:143], v[243:244]
	v_add_f64 v[10:11], v[150:151], v[10:11]
	v_fma_f64 v[150:151], v[114:115], s[24:25], v[160:161]
	v_add_f64 v[68:69], v[144:145], v[68:69]
	v_fma_f64 v[144:145], v[102:103], s[10:11], v[152:153]
	;; [unrolled: 2-line block ×3, first 2 shown]
	v_add_f64 v[138:139], v[187:188], v[138:139]
	v_fma_f64 v[152:153], v[102:103], s[10:11], -v[152:153]
	v_fma_f64 v[154:155], v[100:101], s[28:29], v[154:155]
	v_mul_f64 v[231:232], v[98:99], s[34:35]
	v_mul_f64 v[233:234], v[94:95], s[24:25]
	;; [unrolled: 1-line block ×3, first 2 shown]
	v_add_f64 v[136:137], v[140:141], v[189:190]
	v_fma_f64 v[134:135], v[122:123], s[54:55], v[241:242]
	v_add_f64 v[142:143], v[150:151], v[142:143]
	v_fma_f64 v[150:151], v[96:97], s[16:17], v[227:228]
	v_add_f64 v[10:11], v[144:145], v[10:11]
	v_fma_f64 v[144:145], v[92:93], s[44:45], v[229:230]
	v_add_f64 v[68:69], v[175:176], v[68:69]
	v_add_f64 v[70:71], v[152:153], v[70:71]
	v_fma_f64 v[189:190], v[96:97], s[16:17], -v[227:228]
	v_add_f64 v[138:139], v[154:155], v[138:139]
	v_fma_f64 v[203:204], v[92:93], s[30:31], v[229:230]
	v_mul_f64 v[156:157], v[90:91], s[36:37]
	v_mul_f64 v[158:159], v[84:85], s[22:23]
	;; [unrolled: 1-line block ×4, first 2 shown]
	v_add_f64 v[134:135], v[134:135], v[177:178]
	v_fma_f64 v[175:176], v[88:89], s[24:25], v[231:232]
	v_fma_f64 v[152:153], v[86:87], s[52:53], v[233:234]
	v_add_f64 v[10:11], v[150:151], v[10:11]
	v_add_f64 v[68:69], v[144:145], v[68:69]
	;; [unrolled: 1-line block ×3, first 2 shown]
	v_fma_f64 v[221:222], v[88:89], s[24:25], -v[231:232]
	v_fma_f64 v[223:224], v[86:87], s[34:35], v[233:234]
	v_add_f64 v[138:139], v[203:204], v[138:139]
	v_fma_f64 v[203:204], v[112:113], s[52:53], v[162:163]
	v_mul_f64 v[235:236], v[80:81], s[38:39]
	v_mul_f64 v[237:238], v[76:77], s[18:19]
	;; [unrolled: 1-line block ×4, first 2 shown]
	v_fma_f64 v[154:155], v[82:83], s[22:23], v[156:157]
	v_fma_f64 v[150:151], v[78:79], s[46:47], v[158:159]
	v_fma_f64 v[156:157], v[82:83], s[22:23], -v[156:157]
	v_fma_f64 v[158:159], v[78:79], s[36:37], v[158:159]
	v_add_f64 v[10:11], v[175:176], v[10:11]
	v_fma_f64 v[175:176], v[102:103], s[18:19], v[253:254]
	v_add_f64 v[68:69], v[152:153], v[68:69]
	;; [unrolled: 2-line block ×3, first 2 shown]
	v_add_f64 v[138:139], v[223:224], v[138:139]
	v_add_f64 v[134:135], v[203:204], v[134:135]
	v_mul_f64 v[177:178], v[98:99], s[44:45]
	v_mul_f64 v[187:188], v[94:95], s[16:17]
	v_fma_f64 v[144:145], v[72:73], s[18:19], v[235:236]
	v_fma_f64 v[189:190], v[74:75], s[50:51], v[237:238]
	v_fma_f64 v[225:226], v[72:73], s[18:19], -v[235:236]
	v_fma_f64 v[227:228], v[74:75], s[38:39], v[237:238]
	v_fma_f64 v[221:222], v[96:97], s[22:23], v[148:149]
	v_fma_f64 v[223:224], v[92:93], s[36:37], v[170:171]
	v_fma_f64 v[229:230], v[120:121], s[10:11], -v[239:240]
	v_add_f64 v[142:143], v[175:176], v[142:143]
	v_add_f64 v[10:11], v[154:155], v[10:11]
	;; [unrolled: 1-line block ×8, first 2 shown]
	v_fma_f64 v[231:232], v[122:123], s[28:29], v[241:242]
	v_add_f64 v[142:143], v[221:222], v[142:143]
	v_add_f64 v[132:133], v[144:145], v[10:11]
	;; [unrolled: 1-line block ×8, first 2 shown]
	v_fma_f64 v[144:145], v[88:89], s[16:17], v[177:178]
	v_fma_f64 v[150:151], v[86:87], s[30:31], v[187:188]
	v_mul_f64 v[152:153], v[90:91], s[42:43]
	v_mul_f64 v[154:155], v[84:85], s[4:5]
	v_add_f64 v[156:157], v[229:230], v[205:206]
	v_fma_f64 v[158:159], v[114:115], s[24:25], -v[160:161]
	v_add_f64 v[146:147], v[231:232], v[146:147]
	v_fma_f64 v[160:161], v[112:113], s[34:35], v[162:163]
	v_add_f64 v[142:143], v[144:145], v[142:143]
	v_add_f64 v[10:11], v[150:151], v[10:11]
	v_fma_f64 v[144:145], v[82:83], s[4:5], v[152:153]
	v_fma_f64 v[150:151], v[78:79], s[26:27], v[154:155]
	v_mul_f64 v[162:163], v[80:81], s[40:41]
	v_mul_f64 v[175:176], v[76:77], s[12:13]
	v_add_f64 v[156:157], v[158:159], v[156:157]
	v_fma_f64 v[158:159], v[102:103], s[18:19], -v[253:254]
	v_add_f64 v[146:147], v[160:161], v[146:147]
	v_fma_f64 v[140:141], v[100:101], s[38:39], v[140:141]
	v_add_f64 v[142:143], v[144:145], v[142:143]
	v_add_f64 v[10:11], v[150:151], v[10:11]
	;; [unrolled: 10-line block ×6, first 2 shown]
	v_fma_f64 v[158:159], v[96:97], s[6:7], v[164:165]
	v_fma_f64 v[162:163], v[92:93], s[20:21], v[177:178]
	v_mul_f64 v[175:176], v[98:99], s[14:15]
	v_mul_f64 v[193:194], v[94:95], s[12:13]
	v_add_f64 v[144:145], v[152:153], v[148:149]
	v_fma_f64 v[148:149], v[120:121], s[24:25], -v[160:161]
	v_fma_f64 v[152:153], v[122:123], s[34:35], v[189:190]
	v_add_f64 v[146:147], v[154:155], v[146:147]
	v_add_f64 v[10:11], v[158:159], v[10:11]
	;; [unrolled: 1-line block ×3, first 2 shown]
	v_fma_f64 v[156:157], v[88:89], s[12:13], v[175:176]
	v_fma_f64 v[158:159], v[86:87], s[40:41], v[193:194]
	v_mul_f64 v[160:161], v[90:91], s[28:29]
	v_mul_f64 v[162:163], v[84:85], s[10:11]
	v_add_f64 v[148:149], v[148:149], v[245:246]
	v_add_f64 v[152:153], v[152:153], v[213:214]
	v_fma_f64 v[150:151], v[114:115], s[18:19], -v[150:151]
	v_fma_f64 v[170:171], v[112:113], s[50:51], v[170:171]
	v_add_f64 v[10:11], v[156:157], v[10:11]
	v_add_f64 v[154:155], v[158:159], v[154:155]
	v_fma_f64 v[156:157], v[82:83], s[10:11], v[160:161]
	v_fma_f64 v[158:159], v[78:79], s[54:55], v[162:163]
	v_mul_f64 v[189:190], v[80:81], s[36:37]
	v_mul_f64 v[195:196], v[76:77], s[22:23]
	v_add_f64 v[148:149], v[150:151], v[148:149]
	v_add_f64 v[150:151], v[170:171], v[152:153]
	v_fma_f64 v[152:153], v[102:103], s[16:17], -v[187:188]
	v_fma_f64 v[170:171], v[100:101], s[44:45], v[191:192]
	v_add_f64 v[10:11], v[156:157], v[10:11]
	v_add_f64 v[154:155], v[158:159], v[154:155]
	;; [unrolled: 10-line block ×17, first 2 shown]
	v_fma_f64 v[10:11], v[120:121], s[16:17], v[199:200]
	v_fma_f64 v[179:180], v[122:123], s[30:31], v[201:202]
	v_mul_f64 v[181:182], v[126:127], s[14:15]
	v_mul_f64 v[197:198], v[124:125], s[12:13]
	v_add_f64 v[175:176], v[177:178], v[175:176]
	v_fma_f64 v[177:178], v[88:89], s[10:11], -v[189:190]
	v_add_f64 v[170:171], v[195:196], v[170:171]
	v_fma_f64 v[189:190], v[86:87], s[54:55], v[191:192]
	v_add_f64 v[10:11], v[10:11], v[168:169]
	v_add_f64 v[168:169], v[179:180], v[251:252]
	v_fma_f64 v[179:180], v[114:115], s[12:13], v[181:182]
	v_fma_f64 v[191:192], v[112:113], s[40:41], v[197:198]
	v_mul_f64 v[195:196], v[118:119], s[36:37]
	v_mul_f64 v[207:208], v[116:117], s[22:23]
	v_add_f64 v[175:176], v[177:178], v[175:176]
	v_fma_f64 v[177:178], v[82:83], s[12:13], -v[187:188]
	v_add_f64 v[170:171], v[189:190], v[170:171]
	v_fma_f64 v[187:188], v[78:79], s[14:15], v[193:194]
	v_add_f64 v[10:11], v[179:180], v[10:11]
	v_add_f64 v[168:169], v[191:192], v[168:169]
	;; [unrolled: 10-line block ×3, first 2 shown]
	v_fma_f64 v[189:190], v[96:97], s[10:11], v[191:192]
	v_fma_f64 v[203:204], v[92:93], s[28:29], v[193:194]
	v_mul_f64 v[205:206], v[98:99], s[20:21]
	v_mul_f64 v[213:214], v[94:95], s[6:7]
	v_add_f64 v[168:169], v[177:178], v[175:176]
	v_fma_f64 v[175:176], v[120:121], s[16:17], -v[199:200]
	v_fma_f64 v[177:178], v[122:123], s[44:45], v[201:202]
	v_add_f64 v[170:171], v[187:188], v[170:171]
	v_add_f64 v[10:11], v[189:190], v[10:11]
	;; [unrolled: 1-line block ×3, first 2 shown]
	v_fma_f64 v[187:188], v[88:89], s[6:7], v[205:206]
	v_fma_f64 v[189:190], v[86:87], s[48:49], v[213:214]
	v_mul_f64 v[199:200], v[90:91], s[38:39]
	v_mul_f64 v[201:202], v[84:85], s[18:19]
	v_add_f64 v[106:107], v[175:176], v[106:107]
	v_add_f64 v[175:176], v[177:178], v[219:220]
	v_fma_f64 v[177:178], v[114:115], s[12:13], -v[181:182]
	v_fma_f64 v[181:182], v[112:113], s[14:15], v[197:198]
	v_add_f64 v[10:11], v[187:188], v[10:11]
	v_add_f64 v[179:180], v[189:190], v[179:180]
	v_fma_f64 v[187:188], v[82:83], s[18:19], v[199:200]
	v_fma_f64 v[189:190], v[78:79], s[50:51], v[201:202]
	v_mul_f64 v[197:198], v[80:81], s[42:43]
	v_mul_f64 v[203:204], v[76:77], s[4:5]
	v_add_f64 v[106:107], v[177:178], v[106:107]
	v_add_f64 v[175:176], v[181:182], v[175:176]
	v_fma_f64 v[181:182], v[100:101], s[36:37], v[207:208]
	v_fma_f64 v[177:178], v[102:103], s[22:23], -v[195:196]
	v_add_f64 v[10:11], v[187:188], v[10:11]
	v_add_f64 v[179:180], v[189:190], v[179:180]
	v_fma_f64 v[187:188], v[72:73], s[4:5], v[197:198]
	v_fma_f64 v[189:190], v[74:75], s[26:27], v[203:204]
	v_mul_f64 v[195:196], v[130:131], s[42:43]
	v_mul_f64 v[207:208], v[128:129], s[4:5]
	v_add_f64 v[181:182], v[181:182], v[175:176]
	v_fma_f64 v[193:194], v[92:93], s[54:55], v[193:194]
	v_add_f64 v[106:107], v[177:178], v[106:107]
	v_fma_f64 v[191:192], v[96:97], s[10:11], -v[191:192]
	v_add_f64 v[175:176], v[187:188], v[10:11]
	v_add_f64 v[177:178], v[189:190], v[179:180]
	v_fma_f64 v[10:11], v[120:121], s[4:5], v[195:196]
	v_fma_f64 v[179:180], v[122:123], s[26:27], v[207:208]
	v_mul_f64 v[187:188], v[126:127], s[28:29]
	v_mul_f64 v[189:190], v[124:125], s[10:11]
	v_add_f64 v[181:182], v[193:194], v[181:182]
	v_fma_f64 v[193:194], v[86:87], s[20:21], v[213:214]
	v_add_f64 v[106:107], v[191:192], v[106:107]
	;; [unrolled: 10-line block ×3, first 2 shown]
	v_fma_f64 v[191:192], v[82:83], s[18:19], -v[199:200]
	v_add_f64 v[10:11], v[183:184], v[10:11]
	v_add_f64 v[179:180], v[205:206], v[179:180]
	v_fma_f64 v[183:184], v[102:103], s[24:25], v[209:210]
	v_fma_f64 v[199:200], v[100:101], s[34:35], v[213:214]
	v_mul_f64 v[201:202], v[110:111], s[14:15]
	v_mul_f64 v[205:206], v[108:109], s[12:13]
	v_add_f64 v[181:182], v[193:194], v[181:182]
	v_fma_f64 v[193:194], v[120:121], s[4:5], -v[195:196]
	v_add_f64 v[106:107], v[191:192], v[106:107]
	v_fma_f64 v[191:192], v[72:73], s[4:5], -v[197:198]
	v_add_f64 v[10:11], v[183:184], v[10:11]
	v_add_f64 v[179:180], v[199:200], v[179:180]
	v_fma_f64 v[183:184], v[96:97], s[12:13], v[201:202]
	v_fma_f64 v[195:196], v[92:93], s[40:41], v[205:206]
	v_mul_f64 v[197:198], v[98:99], s[38:39]
	v_mul_f64 v[199:200], v[94:95], s[18:19]
	v_add_f64 v[193:194], v[193:194], v[211:212]
	v_fma_f64 v[207:208], v[122:123], s[42:43], v[207:208]
	v_fma_f64 v[187:188], v[114:115], s[10:11], -v[187:188]
	v_fma_f64 v[189:190], v[112:113], s[28:29], v[189:190]
	v_add_f64 v[10:11], v[183:184], v[10:11]
	v_add_f64 v[179:180], v[195:196], v[179:180]
	v_fma_f64 v[183:184], v[88:89], s[18:19], v[197:198]
	v_fma_f64 v[195:196], v[86:87], s[50:51], v[199:200]
	v_mul_f64 v[130:131], v[130:131], s[40:41]
	v_add_f64 v[4:5], v[207:208], v[4:5]
	v_add_f64 v[187:188], v[187:188], v[193:194]
	v_fma_f64 v[193:194], v[102:103], s[24:25], -v[209:210]
	v_mul_f64 v[128:129], v[128:129], s[12:13]
	v_mul_f64 v[126:127], v[126:127], s[36:37]
	v_add_f64 v[10:11], v[183:184], v[10:11]
	v_add_f64 v[183:184], v[195:196], v[179:180]
	;; [unrolled: 1-line block ×4, first 2 shown]
	v_fma_f64 v[189:190], v[96:97], s[12:13], -v[201:202]
	v_add_f64 v[106:107], v[193:194], v[187:188]
	v_fma_f64 v[187:188], v[100:101], s[52:53], v[213:214]
	v_fma_f64 v[201:202], v[122:123], s[14:15], v[128:129]
	v_mul_f64 v[124:125], v[124:125], s[22:23]
	v_fma_f64 v[122:123], v[122:123], s[40:41], v[128:129]
	v_mul_f64 v[118:119], v[118:119], s[48:49]
	v_mul_f64 v[116:117], v[116:117], s[6:7]
	;; [unrolled: 1-line block ×3, first 2 shown]
	v_add_f64 v[106:107], v[189:190], v[106:107]
	v_add_f64 v[4:5], v[187:188], v[4:5]
	v_fma_f64 v[187:188], v[92:93], s[14:15], v[205:206]
	v_fma_f64 v[189:190], v[88:89], s[18:19], -v[197:198]
	v_fma_f64 v[197:198], v[120:121], s[12:13], v[130:131]
	v_fma_f64 v[120:121], v[120:121], s[12:13], -v[130:131]
	v_add_f64 v[185:186], v[201:202], v[185:186]
	v_add_f64 v[8:9], v[122:123], v[8:9]
	v_mul_f64 v[108:109], v[108:109], s[24:25]
	v_mul_f64 v[98:99], v[98:99], s[42:43]
	v_add_f64 v[4:5], v[187:188], v[4:5]
	v_add_f64 v[106:107], v[189:190], v[106:107]
	v_fma_f64 v[187:188], v[86:87], s[38:39], v[199:200]
	v_add_f64 v[6:7], v[197:198], v[6:7]
	v_fma_f64 v[189:190], v[114:115], s[22:23], v[126:127]
	v_fma_f64 v[197:198], v[112:113], s[46:47], v[124:125]
	v_add_f64 v[120:121], v[120:121], v[249:250]
	v_fma_f64 v[114:115], v[114:115], s[22:23], -v[126:127]
	v_fma_f64 v[112:113], v[112:113], s[36:37], v[124:125]
	v_mul_f64 v[94:95], v[94:95], s[4:5]
	v_add_f64 v[4:5], v[187:188], v[4:5]
	v_fma_f64 v[187:188], v[100:101], s[20:21], v[116:117]
	v_add_f64 v[6:7], v[189:190], v[6:7]
	v_add_f64 v[128:129], v[197:198], v[185:186]
	v_fma_f64 v[185:186], v[102:103], s[6:7], v[118:119]
	v_add_f64 v[114:115], v[114:115], v[120:121]
	v_fma_f64 v[102:103], v[102:103], s[6:7], -v[118:119]
	v_add_f64 v[8:9], v[112:113], v[8:9]
	v_fma_f64 v[100:101], v[100:101], s[48:49], v[116:117]
	v_fma_f64 v[118:119], v[96:97], s[24:25], v[110:111]
	;; [unrolled: 1-line block ×3, first 2 shown]
	v_add_f64 v[122:123], v[187:188], v[128:129]
	v_add_f64 v[6:7], v[185:186], v[6:7]
	v_fma_f64 v[96:97], v[96:97], s[24:25], -v[110:111]
	v_add_f64 v[102:103], v[102:103], v[114:115]
	v_fma_f64 v[92:93], v[92:93], s[34:35], v[108:109]
	v_add_f64 v[8:9], v[100:101], v[8:9]
	v_mul_f64 v[215:216], v[84:85], s[6:7]
	v_mul_f64 v[211:212], v[90:91], s[48:49]
	v_add_f64 v[110:111], v[120:121], v[122:123]
	v_add_f64 v[6:7], v[118:119], v[6:7]
	v_fma_f64 v[114:115], v[88:89], s[4:5], v[98:99]
	v_mul_f64 v[90:91], v[90:91], s[30:31]
	v_fma_f64 v[100:101], v[86:87], s[26:27], v[94:95]
	v_add_f64 v[96:97], v[96:97], v[102:103]
	v_fma_f64 v[88:89], v[88:89], s[4:5], -v[98:99]
	v_mul_f64 v[84:85], v[84:85], s[16:17]
	v_add_f64 v[8:9], v[92:93], v[8:9]
	v_fma_f64 v[86:87], v[86:87], s[42:43], v[94:95]
	v_mul_f64 v[193:194], v[76:77], s[16:17]
	v_fma_f64 v[112:113], v[78:79], s[48:49], v[215:216]
	v_fma_f64 v[203:204], v[74:75], s[42:43], v[203:204]
	v_fma_f64 v[195:196], v[82:83], s[6:7], v[211:212]
	v_fma_f64 v[207:208], v[78:79], s[20:21], v[215:216]
	v_mul_f64 v[191:192], v[80:81], s[30:31]
	v_fma_f64 v[130:131], v[82:83], s[6:7], -v[211:212]
	v_add_f64 v[6:7], v[114:115], v[6:7]
	v_fma_f64 v[92:93], v[82:83], s[16:17], v[90:91]
	v_add_f64 v[94:95], v[100:101], v[110:111]
	v_add_f64 v[88:89], v[88:89], v[96:97]
	v_fma_f64 v[82:83], v[82:83], s[16:17], -v[90:91]
	v_fma_f64 v[90:91], v[78:79], s[44:45], v[84:85]
	v_mul_f64 v[80:81], v[80:81], s[54:55]
	v_mul_f64 v[76:77], v[76:77], s[10:11]
	v_add_f64 v[8:9], v[86:87], v[8:9]
	v_fma_f64 v[78:79], v[78:79], s[30:31], v[84:85]
	v_add_f64 v[4:5], v[112:113], v[4:5]
	v_fma_f64 v[86:87], v[74:75], s[30:31], v[193:194]
	v_add_f64 v[181:182], v[203:204], v[181:182]
	v_add_f64 v[10:11], v[195:196], v[10:11]
	;; [unrolled: 1-line block ×3, first 2 shown]
	v_fma_f64 v[195:196], v[72:73], s[16:17], v[191:192]
	v_fma_f64 v[203:204], v[74:75], s[44:45], v[193:194]
	v_add_f64 v[106:107], v[130:131], v[106:107]
	v_add_f64 v[6:7], v[92:93], v[6:7]
	v_fma_f64 v[84:85], v[72:73], s[16:17], -v[191:192]
	v_add_f64 v[90:91], v[90:91], v[94:95]
	v_fma_f64 v[92:93], v[72:73], s[10:11], v[80:81]
	v_add_f64 v[88:89], v[82:83], v[88:89]
	v_fma_f64 v[82:83], v[74:75], s[28:29], v[76:77]
	v_add_f64 v[8:9], v[78:79], v[8:9]
	v_fma_f64 v[94:95], v[72:73], s[10:11], -v[80:81]
	v_fma_f64 v[96:97], v[74:75], s[54:55], v[76:77]
	v_add_f64 v[78:79], v[86:87], v[4:5]
	v_mul_u32_u24_e32 v4, 0x110, v104
	v_add_f64 v[72:73], v[195:196], v[10:11]
	v_add_f64 v[74:75], v[203:204], v[183:184]
	v_add3_u32 v4, 0, v4, v174
	v_add_f64 v[76:77], v[84:85], v[106:107]
	v_add_f64 v[80:81], v[92:93], v[6:7]
	;; [unrolled: 1-line block ×5, first 2 shown]
	s_waitcnt lgkmcnt(0)
	; wave barrier
	ds_write_b128 v4, v[136:139]
	ds_write_b128 v4, v[132:135] offset:16
	ds_write_b128 v4, v[140:143] offset:32
	;; [unrolled: 1-line block ×16, first 2 shown]
	s_and_saveexec_b64 s[56:57], vcc
	s_cbranch_execz .LBB0_18
; %bb.17:
	buffer_load_dword v228, off, s[60:63], 0 offset:8 ; 4-byte Folded Reload
	buffer_load_dword v229, off, s[60:63], 0 offset:12 ; 4-byte Folded Reload
	;; [unrolled: 1-line block ×8, first 2 shown]
	v_add_f64 v[156:157], v[48:49], -v[12:13]
	v_add_f64 v[150:151], v[36:37], -v[16:17]
	v_add_f64 v[118:119], v[50:51], v[14:15]
	v_add_f64 v[116:117], v[38:39], v[18:19]
	v_add_f64 v[142:143], v[40:41], -v[20:21]
	v_add_f64 v[132:133], v[52:53], -v[24:25]
	v_add_f64 v[114:115], v[42:43], v[22:23]
	v_add_f64 v[152:153], v[50:51], -v[14:15]
	v_mul_f64 v[10:11], v[156:157], s[36:37]
	v_mul_f64 v[70:71], v[150:151], s[48:49]
	v_add_f64 v[130:131], v[56:57], -v[28:29]
	v_add_f64 v[112:113], v[54:55], v[26:27]
	v_add_f64 v[146:147], v[38:39], -v[18:19]
	v_add_f64 v[134:135], v[48:49], v[12:13]
	v_mul_f64 v[80:81], v[132:133], s[42:43]
	v_mul_f64 v[90:91], v[152:153], s[36:37]
	v_fma_f64 v[72:73], v[118:119], s[22:23], v[10:11]
	v_fma_f64 v[74:75], v[116:117], s[6:7], v[70:71]
	v_fma_f64 v[10:11], v[118:119], s[22:23], -v[10:11]
	v_add_f64 v[110:111], v[58:59], v[30:31]
	v_add_f64 v[144:145], v[42:43], -v[22:23]
	v_add_f64 v[128:129], v[36:37], v[16:17]
	v_mul_f64 v[78:79], v[130:131], s[30:31]
	v_mul_f64 v[88:89], v[146:147], s[48:49]
	v_fma_f64 v[92:93], v[112:113], s[4:5], v[80:81]
	v_fma_f64 v[96:97], v[134:135], s[22:23], -v[90:91]
	v_fma_f64 v[70:71], v[116:117], s[6:7], -v[70:71]
	v_add_f64 v[140:141], v[54:55], -v[26:27]
	v_add_f64 v[124:125], v[40:41], v[20:21]
	v_mul_f64 v[82:83], v[144:145], s[34:35]
	v_fma_f64 v[90:91], v[134:135], s[22:23], v[90:91]
	v_add_f64 v[138:139], v[58:59], -v[30:31]
	v_add_f64 v[166:167], v[52:53], v[24:25]
	v_fma_f64 v[80:81], v[112:113], s[4:5], -v[80:81]
	v_add_f64 v[164:165], v[56:57], v[28:29]
	v_add_f64 v[126:127], v[44:45], -v[32:33]
	v_add_f64 v[108:109], v[46:47], v[34:35]
	v_mul_f64 v[106:107], v[150:151], s[52:53]
	v_mul_f64 v[178:179], v[152:153], s[28:29]
	v_add_f64 v[136:137], v[46:47], -v[34:35]
	v_mul_f64 v[182:183], v[146:147], s[52:53]
	v_add_f64 v[162:163], v[44:45], v[32:33]
	v_mul_f64 v[186:187], v[146:147], s[36:37]
	v_mul_f64 v[76:77], v[126:127], s[54:55]
	;; [unrolled: 1-line block ×4, first 2 shown]
	v_fma_f64 v[184:185], v[134:135], s[10:11], -v[178:179]
	v_fma_f64 v[178:179], v[134:135], s[10:11], v[178:179]
	v_add_u32_e32 v175, 17, v104
	v_fma_f64 v[206:207], v[114:115], s[6:7], v[202:203]
	s_waitcnt vmcnt(6)
	v_add_f64 v[170:171], v[64:65], -v[228:229]
	s_waitcnt vmcnt(2)
	v_add_f64 v[168:169], v[60:61], -v[232:233]
	v_add_f64 v[122:123], v[66:67], v[230:231]
	s_waitcnt vmcnt(0)
	v_add_f64 v[120:121], v[62:63], v[234:235]
	v_add_f64 v[160:161], v[66:67], -v[230:231]
	v_add_f64 v[158:159], v[62:63], -v[234:235]
	v_add_f64 v[154:155], v[64:65], v[228:229]
	v_add_f64 v[148:149], v[60:61], v[232:233]
	v_mul_f64 v[4:5], v[170:171], s[38:39]
	v_mul_f64 v[6:7], v[168:169], s[40:41]
	v_add_f64 v[66:67], v[2:3], v[66:67]
	v_add_f64 v[64:65], v[0:1], v[64:65]
	v_mul_f64 v[84:85], v[158:159], s[40:41]
	v_mul_f64 v[98:99], v[158:159], s[42:43]
	v_fma_f64 v[8:9], v[122:123], s[18:19], v[4:5]
	v_fma_f64 v[68:69], v[120:121], s[12:13], v[6:7]
	v_fma_f64 v[4:5], v[122:123], s[18:19], -v[4:5]
	v_fma_f64 v[6:7], v[120:121], s[12:13], -v[6:7]
	v_add_f64 v[62:63], v[66:67], v[62:63]
	v_fma_f64 v[94:95], v[148:149], s[12:13], -v[84:85]
	v_fma_f64 v[84:85], v[148:149], s[12:13], v[84:85]
	v_fma_f64 v[180:181], v[148:149], s[4:5], -v[98:99]
	v_add_f64 v[8:9], v[2:3], v[8:9]
	v_fma_f64 v[98:99], v[148:149], s[4:5], v[98:99]
	v_add_f64 v[4:5], v[2:3], v[4:5]
	v_add_f64 v[60:61], v[64:65], v[60:61]
	;; [unrolled: 1-line block ×3, first 2 shown]
	v_mul_f64 v[66:67], v[150:151], s[28:29]
	v_mul_f64 v[62:63], v[142:143], s[30:31]
	v_add_f64 v[8:9], v[68:69], v[8:9]
	v_mul_f64 v[68:69], v[142:143], s[34:35]
	v_add_f64 v[4:5], v[6:7], v[4:5]
	v_fma_f64 v[6:7], v[108:109], s[10:11], v[76:77]
	v_add_f64 v[48:49], v[60:61], v[48:49]
	v_add_f64 v[38:39], v[50:51], v[38:39]
	v_mul_f64 v[50:51], v[132:133], s[34:35]
	v_add_f64 v[8:9], v[72:73], v[8:9]
	v_mul_f64 v[72:73], v[160:161], s[38:39]
	v_fma_f64 v[86:87], v[114:115], s[24:25], v[68:69]
	v_add_f64 v[4:5], v[10:11], v[4:5]
	v_fma_f64 v[68:69], v[114:115], s[24:25], -v[68:69]
	v_mul_f64 v[10:11], v[140:141], s[42:43]
	v_add_f64 v[36:37], v[48:49], v[36:37]
	v_add_f64 v[38:39], v[38:39], v[42:43]
	;; [unrolled: 1-line block ×3, first 2 shown]
	v_fma_f64 v[74:75], v[154:155], s[18:19], -v[72:73]
	v_fma_f64 v[72:73], v[154:155], s[18:19], v[72:73]
	v_add_f64 v[4:5], v[70:71], v[4:5]
	v_mul_f64 v[42:43], v[130:131], s[36:37]
	v_fma_f64 v[70:71], v[166:167], s[4:5], -v[10:11]
	v_fma_f64 v[10:11], v[166:167], s[4:5], v[10:11]
	v_add_f64 v[40:41], v[36:37], v[40:41]
	v_add_f64 v[8:9], v[86:87], v[8:9]
	;; [unrolled: 1-line block ×4, first 2 shown]
	v_fma_f64 v[86:87], v[110:111], s[16:17], v[78:79]
	v_add_f64 v[4:5], v[68:69], v[4:5]
	v_fma_f64 v[78:79], v[110:111], s[16:17], -v[78:79]
	v_mul_f64 v[68:69], v[136:137], s[54:55]
	v_add_f64 v[8:9], v[92:93], v[8:9]
	v_add_f64 v[74:75], v[94:95], v[74:75]
	v_fma_f64 v[92:93], v[128:129], s[6:7], -v[88:89]
	v_add_f64 v[72:73], v[84:85], v[72:73]
	v_fma_f64 v[84:85], v[124:125], s[24:25], -v[82:83]
	v_fma_f64 v[82:83], v[124:125], s[24:25], v[82:83]
	v_add_f64 v[4:5], v[80:81], v[4:5]
	v_mul_f64 v[94:95], v[156:157], s[28:29]
	v_add_f64 v[8:9], v[86:87], v[8:9]
	v_add_f64 v[74:75], v[96:97], v[74:75]
	v_fma_f64 v[86:87], v[128:129], s[6:7], v[88:89]
	v_add_f64 v[72:73], v[90:91], v[72:73]
	v_mul_f64 v[88:89], v[138:139], s[30:31]
	v_mul_f64 v[80:81], v[132:133], s[38:39]
	v_add_f64 v[4:5], v[78:79], v[4:5]
	v_mul_f64 v[78:79], v[170:171], s[36:37]
	v_fma_f64 v[176:177], v[118:119], s[10:11], v[94:95]
	v_add_f64 v[74:75], v[92:93], v[74:75]
	v_fma_f64 v[94:95], v[118:119], s[10:11], -v[94:95]
	v_add_f64 v[72:73], v[86:87], v[72:73]
	v_mul_f64 v[86:87], v[168:169], s[42:43]
	v_fma_f64 v[92:93], v[112:113], s[18:19], v[80:81]
	v_fma_f64 v[80:81], v[112:113], s[18:19], -v[80:81]
	v_fma_f64 v[90:91], v[122:123], s[22:23], v[78:79]
	v_fma_f64 v[78:79], v[122:123], s[22:23], -v[78:79]
	v_add_f64 v[74:75], v[84:85], v[74:75]
	v_fma_f64 v[84:85], v[164:165], s[16:17], -v[88:89]
	v_add_f64 v[72:73], v[82:83], v[72:73]
	v_fma_f64 v[102:103], v[120:121], s[4:5], v[86:87]
	v_fma_f64 v[86:87], v[120:121], s[4:5], -v[86:87]
	v_mul_f64 v[82:83], v[126:127], s[30:31]
	v_add_f64 v[90:91], v[2:3], v[90:91]
	v_add_f64 v[78:79], v[2:3], v[78:79]
	;; [unrolled: 1-line block ×5, first 2 shown]
	v_fma_f64 v[8:9], v[164:165], s[16:17], v[88:89]
	v_fma_f64 v[6:7], v[162:163], s[10:11], -v[68:69]
	v_add_f64 v[90:91], v[102:103], v[90:91]
	v_add_f64 v[78:79], v[86:87], v[78:79]
	;; [unrolled: 1-line block ×3, first 2 shown]
	v_mul_f64 v[84:85], v[160:161], s[36:37]
	v_fma_f64 v[102:103], v[116:117], s[24:25], v[106:107]
	v_add_f64 v[8:9], v[8:9], v[10:11]
	v_mul_f64 v[10:11], v[142:143], s[14:15]
	v_fma_f64 v[106:107], v[116:117], s[24:25], -v[106:107]
	v_add_f64 v[86:87], v[176:177], v[90:91]
	v_add_f64 v[78:79], v[94:95], v[78:79]
	v_mul_f64 v[90:91], v[144:145], s[14:15]
	v_fma_f64 v[100:101], v[154:155], s[22:23], -v[84:85]
	v_fma_f64 v[84:85], v[154:155], s[22:23], v[84:85]
	v_fma_f64 v[176:177], v[128:129], s[24:25], -v[182:183]
	v_fma_f64 v[96:97], v[114:115], s[12:13], v[10:11]
	v_fma_f64 v[10:11], v[114:115], s[12:13], -v[10:11]
	v_add_f64 v[86:87], v[102:103], v[86:87]
	v_add_f64 v[78:79], v[106:107], v[78:79]
	v_fma_f64 v[106:107], v[128:129], s[24:25], v[182:183]
	v_add_f64 v[100:101], v[0:1], v[100:101]
	v_add_f64 v[84:85], v[0:1], v[84:85]
	v_fma_f64 v[74:75], v[108:109], s[10:11], -v[76:77]
	v_fma_f64 v[76:77], v[162:163], s[10:11], v[68:69]
	v_mul_f64 v[68:69], v[130:131], s[48:49]
	v_mul_f64 v[94:95], v[140:141], s[38:39]
	v_fma_f64 v[102:103], v[124:125], s[12:13], -v[90:91]
	v_add_f64 v[86:87], v[96:97], v[86:87]
	v_add_f64 v[100:101], v[180:181], v[100:101]
	;; [unrolled: 1-line block ×4, first 2 shown]
	v_fma_f64 v[90:91], v[124:125], s[12:13], v[90:91]
	v_fma_f64 v[88:89], v[110:111], s[6:7], v[68:69]
	v_mul_f64 v[96:97], v[138:139], s[48:49]
	v_fma_f64 v[68:69], v[110:111], s[6:7], -v[68:69]
	v_add_f64 v[78:79], v[92:93], v[86:87]
	v_add_f64 v[100:101], v[184:185], v[100:101]
	;; [unrolled: 1-line block ×4, first 2 shown]
	v_mul_f64 v[86:87], v[136:137], s[30:31]
	v_fma_f64 v[80:81], v[108:109], s[16:17], v[82:83]
	v_fma_f64 v[92:93], v[164:165], s[6:7], -v[96:97]
	v_add_f64 v[76:77], v[76:77], v[8:9]
	v_add_f64 v[88:89], v[88:89], v[78:79]
	;; [unrolled: 1-line block ×4, first 2 shown]
	v_fma_f64 v[100:101], v[166:167], s[18:19], -v[94:95]
	v_fma_f64 v[94:95], v[166:167], s[18:19], v[94:95]
	v_add_f64 v[10:11], v[68:69], v[10:11]
	v_add_f64 v[68:69], v[6:7], v[72:73]
	;; [unrolled: 1-line block ×3, first 2 shown]
	v_fma_f64 v[4:5], v[164:165], s[6:7], v[96:97]
	v_add_f64 v[98:99], v[102:103], v[98:99]
	v_add_f64 v[84:85], v[90:91], v[84:85]
	v_mul_f64 v[8:9], v[170:171], s[34:35]
	v_add_f64 v[74:75], v[80:81], v[88:89]
	v_fma_f64 v[80:81], v[162:163], s[16:17], v[86:87]
	v_mul_f64 v[102:103], v[156:157], s[14:15]
	v_mul_f64 v[180:181], v[152:153], s[14:15]
	;; [unrolled: 1-line block ×3, first 2 shown]
	v_add_f64 v[98:99], v[100:101], v[98:99]
	v_add_f64 v[6:7], v[94:95], v[84:85]
	v_fma_f64 v[100:101], v[162:163], s[16:17], -v[86:87]
	v_mul_f64 v[86:87], v[168:169], s[44:45]
	v_mul_f64 v[94:95], v[142:143], s[54:55]
	v_fma_f64 v[184:185], v[118:119], s[12:13], v[102:103]
	v_fma_f64 v[188:189], v[134:135], s[12:13], -v[180:181]
	v_fma_f64 v[102:103], v[118:119], s[12:13], -v[102:103]
	v_add_f64 v[90:91], v[92:93], v[98:99]
	v_add_f64 v[4:5], v[4:5], v[6:7]
	v_mul_f64 v[6:7], v[160:161], s[34:35]
	v_mul_f64 v[98:99], v[158:159], s[44:45]
	v_fma_f64 v[106:107], v[120:121], s[16:17], v[86:87]
	v_fma_f64 v[86:87], v[120:121], s[16:17], -v[86:87]
	v_fma_f64 v[82:83], v[108:109], s[16:17], -v[82:83]
	v_mul_f64 v[84:85], v[132:133], s[20:21]
	v_add_f64 v[72:73], v[100:101], v[90:91]
	v_fma_f64 v[90:91], v[122:123], s[24:25], v[8:9]
	v_fma_f64 v[100:101], v[154:155], s[24:25], -v[6:7]
	v_fma_f64 v[182:183], v[148:149], s[16:17], -v[98:99]
	;; [unrolled: 1-line block ×3, first 2 shown]
	v_fma_f64 v[6:7], v[154:155], s[24:25], v[6:7]
	v_fma_f64 v[98:99], v[148:149], s[16:17], v[98:99]
	;; [unrolled: 1-line block ×3, first 2 shown]
	v_add_f64 v[82:83], v[82:83], v[10:11]
	v_add_f64 v[90:91], v[2:3], v[90:91]
	;; [unrolled: 1-line block ×3, first 2 shown]
	v_mul_f64 v[10:11], v[130:131], s[38:39]
	v_add_f64 v[8:9], v[2:3], v[8:9]
	v_add_f64 v[6:7], v[0:1], v[6:7]
	v_fma_f64 v[96:97], v[112:113], s[6:7], v[84:85]
	v_fma_f64 v[180:181], v[134:135], s[12:13], v[180:181]
	v_fma_f64 v[94:95], v[114:115], s[10:11], -v[94:95]
	v_add_f64 v[90:91], v[106:107], v[90:91]
	v_add_f64 v[100:101], v[182:183], v[100:101]
	v_fma_f64 v[106:107], v[116:117], s[22:23], v[176:177]
	v_add_f64 v[8:9], v[86:87], v[8:9]
	v_mul_f64 v[182:183], v[144:145], s[54:55]
	v_add_f64 v[6:7], v[98:99], v[6:7]
	v_mul_f64 v[88:89], v[126:127], s[42:43]
	v_fma_f64 v[92:93], v[110:111], s[18:19], v[10:11]
	v_add_f64 v[90:91], v[184:185], v[90:91]
	v_fma_f64 v[184:185], v[128:129], s[22:23], -v[186:187]
	v_add_f64 v[100:101], v[188:189], v[100:101]
	v_add_f64 v[8:9], v[102:103], v[8:9]
	v_mul_f64 v[102:103], v[138:139], s[38:39]
	v_add_f64 v[6:7], v[180:181], v[6:7]
	v_fma_f64 v[84:85], v[112:113], s[6:7], -v[84:85]
	v_fma_f64 v[10:11], v[110:111], s[18:19], -v[10:11]
	v_add_f64 v[86:87], v[106:107], v[90:91]
	v_mul_f64 v[90:91], v[140:141], s[20:21]
	v_add_f64 v[98:99], v[184:185], v[100:101]
	v_fma_f64 v[100:101], v[116:117], s[22:23], -v[176:177]
	v_fma_f64 v[106:107], v[124:125], s[10:11], -v[182:183]
	v_add_f64 v[80:81], v[80:81], v[4:5]
	v_fma_f64 v[4:5], v[164:165], s[18:19], v[102:103]
	v_mul_f64 v[180:181], v[152:153], s[48:49]
	v_add_f64 v[86:87], v[178:179], v[86:87]
	v_fma_f64 v[176:177], v[166:167], s[6:7], -v[90:91]
	v_fma_f64 v[178:179], v[128:129], s[22:23], v[186:187]
	v_add_f64 v[8:9], v[100:101], v[8:9]
	v_add_f64 v[98:99], v[106:107], v[98:99]
	v_fma_f64 v[100:101], v[164:165], s[18:19], -v[102:103]
	v_fma_f64 v[106:107], v[124:125], s[10:11], v[182:183]
	v_fma_f64 v[90:91], v[166:167], s[6:7], v[90:91]
	v_add_f64 v[86:87], v[96:97], v[86:87]
	v_mul_f64 v[96:97], v[136:137], s[42:43]
	v_add_f64 v[6:7], v[178:179], v[6:7]
	v_add_f64 v[8:9], v[94:95], v[8:9]
	;; [unrolled: 1-line block ×3, first 2 shown]
	v_fma_f64 v[94:95], v[108:109], s[4:5], v[88:89]
	v_mul_f64 v[176:177], v[150:151], s[26:27]
	v_mul_f64 v[186:187], v[146:147], s[26:27]
	v_add_f64 v[86:87], v[92:93], v[86:87]
	v_fma_f64 v[92:93], v[162:163], s[4:5], -v[96:97]
	v_add_f64 v[6:7], v[106:107], v[6:7]
	v_add_f64 v[8:9], v[84:85], v[8:9]
	;; [unrolled: 1-line block ×3, first 2 shown]
	v_mul_f64 v[100:101], v[158:159], s[46:47]
	v_fma_f64 v[188:189], v[134:135], s[6:7], -v[180:181]
	v_fma_f64 v[184:185], v[116:117], s[4:5], v[176:177]
	v_add_f64 v[86:87], v[94:95], v[86:87]
	v_mul_f64 v[94:95], v[170:171], s[30:31]
	v_add_f64 v[6:7], v[90:91], v[6:7]
	v_add_f64 v[8:9], v[10:11], v[8:9]
	v_mul_f64 v[10:11], v[160:161], s[30:31]
	v_add_f64 v[84:85], v[92:93], v[98:99]
	v_mul_f64 v[90:91], v[168:169], s[46:47]
	v_fma_f64 v[92:93], v[162:163], s[4:5], v[96:97]
	v_fma_f64 v[182:183], v[148:149], s[22:23], -v[100:101]
	v_fma_f64 v[96:97], v[122:123], s[16:17], v[94:95]
	v_fma_f64 v[94:95], v[122:123], s[16:17], -v[94:95]
	v_add_f64 v[4:5], v[4:5], v[6:7]
	v_fma_f64 v[102:103], v[154:155], s[16:17], -v[10:11]
	v_mul_f64 v[6:7], v[156:157], s[48:49]
	v_fma_f64 v[106:107], v[120:121], s[22:23], v[90:91]
	v_fma_f64 v[90:91], v[120:121], s[22:23], -v[90:91]
	v_fma_f64 v[190:191], v[128:129], s[4:5], -v[186:187]
	v_add_f64 v[96:97], v[2:3], v[96:97]
	v_add_f64 v[94:95], v[2:3], v[94:95]
	v_fma_f64 v[176:177], v[116:117], s[4:5], -v[176:177]
	v_add_f64 v[102:103], v[0:1], v[102:103]
	v_fma_f64 v[178:179], v[118:119], s[6:7], v[6:7]
	v_fma_f64 v[6:7], v[118:119], s[6:7], -v[6:7]
	v_fma_f64 v[10:11], v[154:155], s[16:17], v[10:11]
	v_fma_f64 v[88:89], v[108:109], s[4:5], -v[88:89]
	v_add_f64 v[96:97], v[106:107], v[96:97]
	v_add_f64 v[90:91], v[90:91], v[94:95]
	v_mul_f64 v[106:107], v[142:143], s[38:39]
	v_add_f64 v[102:103], v[182:183], v[102:103]
	v_mul_f64 v[182:183], v[144:145], s[38:39]
	v_mul_f64 v[98:99], v[126:127], s[34:35]
	v_fma_f64 v[100:101], v[148:149], s[22:23], v[100:101]
	v_add_f64 v[10:11], v[0:1], v[10:11]
	v_add_f64 v[94:95], v[178:179], v[96:97]
	;; [unrolled: 1-line block ×3, first 2 shown]
	v_mul_f64 v[96:97], v[132:133], s[54:55]
	v_add_f64 v[102:103], v[188:189], v[102:103]
	v_fma_f64 v[178:179], v[114:115], s[18:19], v[106:107]
	v_mul_f64 v[188:189], v[140:141], s[54:55]
	v_fma_f64 v[192:193], v[124:125], s[18:19], -v[182:183]
	v_fma_f64 v[106:107], v[114:115], s[18:19], -v[106:107]
	v_add_f64 v[90:91], v[184:185], v[94:95]
	v_add_f64 v[6:7], v[176:177], v[6:7]
	v_mul_f64 v[94:95], v[130:131], s[14:15]
	v_add_f64 v[102:103], v[190:191], v[102:103]
	v_fma_f64 v[184:185], v[112:113], s[10:11], v[96:97]
	v_fma_f64 v[190:191], v[166:167], s[10:11], -v[188:189]
	v_fma_f64 v[96:97], v[112:113], s[10:11], -v[96:97]
	v_fma_f64 v[180:181], v[134:135], s[6:7], v[180:181]
	v_add_f64 v[90:91], v[178:179], v[90:91]
	v_mul_f64 v[178:179], v[138:139], s[14:15]
	v_add_f64 v[6:7], v[106:107], v[6:7]
	v_add_f64 v[102:103], v[192:193], v[102:103]
	v_fma_f64 v[176:177], v[110:111], s[12:13], v[94:95]
	v_mul_f64 v[106:107], v[136:137], s[34:35]
	v_fma_f64 v[94:95], v[110:111], s[12:13], -v[94:95]
	v_add_f64 v[10:11], v[100:101], v[10:11]
	v_add_f64 v[90:91], v[184:185], v[90:91]
	v_fma_f64 v[184:185], v[164:165], s[12:13], -v[178:179]
	v_add_f64 v[6:7], v[96:97], v[6:7]
	v_add_f64 v[102:103], v[190:191], v[102:103]
	v_fma_f64 v[96:97], v[108:109], s[24:25], v[98:99]
	v_fma_f64 v[98:99], v[108:109], s[24:25], -v[98:99]
	v_add_f64 v[92:93], v[92:93], v[4:5]
	v_fma_f64 v[4:5], v[128:129], s[4:5], v[186:187]
	v_add_f64 v[90:91], v[176:177], v[90:91]
	v_fma_f64 v[176:177], v[162:163], s[24:25], -v[106:107]
	v_add_f64 v[6:7], v[94:95], v[6:7]
	v_add_f64 v[100:101], v[184:185], v[102:103]
	;; [unrolled: 1-line block ×3, first 2 shown]
	v_mul_f64 v[8:9], v[170:171], s[28:29]
	v_add_f64 v[10:11], v[180:181], v[10:11]
	v_add_f64 v[90:91], v[96:97], v[90:91]
	v_fma_f64 v[96:97], v[124:125], s[18:19], v[182:183]
	v_add_f64 v[98:99], v[98:99], v[6:7]
	v_add_f64 v[88:89], v[176:177], v[100:101]
	v_mul_f64 v[6:7], v[160:161], s[28:29]
	v_mul_f64 v[100:101], v[168:169], s[38:39]
	v_fma_f64 v[102:103], v[122:123], s[10:11], v[8:9]
	v_add_f64 v[4:5], v[4:5], v[10:11]
	v_mul_f64 v[176:177], v[158:159], s[38:39]
	v_mul_f64 v[182:183], v[156:157], s[44:45]
	v_fma_f64 v[10:11], v[162:163], s[24:25], v[106:107]
	v_fma_f64 v[106:107], v[166:167], s[10:11], v[188:189]
	v_fma_f64 v[180:181], v[154:155], s[10:11], -v[6:7]
	v_fma_f64 v[184:185], v[120:121], s[18:19], v[100:101]
	v_add_f64 v[102:103], v[2:3], v[102:103]
	v_add_f64 v[4:5], v[96:97], v[4:5]
	v_fma_f64 v[96:97], v[164:165], s[12:13], v[178:179]
	v_mul_f64 v[178:179], v[152:153], s[44:45]
	v_fma_f64 v[186:187], v[148:149], s[18:19], -v[176:177]
	v_mul_f64 v[188:189], v[150:151], s[40:41]
	v_add_f64 v[180:181], v[0:1], v[180:181]
	v_fma_f64 v[190:191], v[118:119], s[16:17], v[182:183]
	v_add_f64 v[102:103], v[184:185], v[102:103]
	v_fma_f64 v[8:9], v[122:123], s[10:11], -v[8:9]
	v_add_f64 v[4:5], v[106:107], v[4:5]
	v_mul_f64 v[106:107], v[146:147], s[40:41]
	v_fma_f64 v[184:185], v[134:135], s[16:17], -v[178:179]
	v_fma_f64 v[192:193], v[116:117], s[12:13], v[188:189]
	v_add_f64 v[180:181], v[186:187], v[180:181]
	v_mul_f64 v[186:187], v[142:143], s[26:27]
	v_add_f64 v[102:103], v[190:191], v[102:103]
	v_fma_f64 v[100:101], v[120:121], s[18:19], -v[100:101]
	v_add_f64 v[8:9], v[2:3], v[8:9]
	v_mul_f64 v[190:191], v[144:145], s[26:27]
	v_fma_f64 v[194:195], v[128:129], s[12:13], -v[106:107]
	v_fma_f64 v[182:183], v[118:119], s[16:17], -v[182:183]
	v_add_f64 v[180:181], v[184:185], v[180:181]
	v_mul_f64 v[184:185], v[132:133], s[36:37]
	v_fma_f64 v[196:197], v[114:115], s[4:5], v[186:187]
	v_add_f64 v[102:103], v[192:193], v[102:103]
	v_add_f64 v[8:9], v[100:101], v[8:9]
	v_mul_f64 v[192:193], v[140:141], s[36:37]
	v_fma_f64 v[100:101], v[124:125], s[4:5], -v[190:191]
	v_fma_f64 v[188:189], v[116:117], s[12:13], -v[188:189]
	v_add_f64 v[180:181], v[194:195], v[180:181]
	v_mul_f64 v[194:195], v[130:131], s[52:53]
	v_fma_f64 v[198:199], v[112:113], s[22:23], v[184:185]
	v_add_f64 v[102:103], v[196:197], v[102:103]
	v_add_f64 v[8:9], v[182:183], v[8:9]
	v_mul_f64 v[196:197], v[138:139], s[52:53]
	v_fma_f64 v[182:183], v[166:167], s[22:23], -v[192:193]
	v_fma_f64 v[186:187], v[114:115], s[4:5], -v[186:187]
	v_add_f64 v[100:101], v[100:101], v[180:181]
	v_mul_f64 v[180:181], v[126:127], s[48:49]
	v_fma_f64 v[200:201], v[110:111], s[24:25], v[194:195]
	v_add_f64 v[102:103], v[198:199], v[102:103]
	v_add_f64 v[8:9], v[188:189], v[8:9]
	v_add_f64 v[4:5], v[96:97], v[4:5]
	v_fma_f64 v[6:7], v[154:155], s[10:11], v[6:7]
	v_mul_f64 v[198:199], v[136:137], s[48:49]
	v_fma_f64 v[188:189], v[164:165], s[24:25], -v[196:197]
	v_add_f64 v[100:101], v[182:183], v[100:101]
	v_fma_f64 v[182:183], v[108:109], s[6:7], v[180:181]
	v_add_f64 v[102:103], v[200:201], v[102:103]
	v_fma_f64 v[184:185], v[112:113], s[22:23], -v[184:185]
	v_add_f64 v[8:9], v[186:187], v[8:9]
	v_add_f64 v[96:97], v[10:11], v[4:5]
	v_fma_f64 v[4:5], v[148:149], s[18:19], v[176:177]
	v_mul_f64 v[10:11], v[170:171], s[26:27]
	v_add_f64 v[6:7], v[0:1], v[6:7]
	v_fma_f64 v[186:187], v[162:163], s[6:7], -v[198:199]
	v_add_f64 v[100:101], v[188:189], v[100:101]
	v_fma_f64 v[176:177], v[110:111], s[24:25], -v[194:195]
	v_add_f64 v[8:9], v[184:185], v[8:9]
	v_add_f64 v[102:103], v[182:183], v[102:103]
	v_fma_f64 v[178:179], v[134:135], s[16:17], v[178:179]
	v_mul_f64 v[182:183], v[168:169], s[34:35]
	v_fma_f64 v[184:185], v[122:123], s[4:5], v[10:11]
	v_add_f64 v[4:5], v[4:5], v[6:7]
	v_fma_f64 v[6:7], v[108:109], s[6:7], -v[180:181]
	v_mul_f64 v[180:181], v[160:161], s[26:27]
	v_add_f64 v[100:101], v[186:187], v[100:101]
	v_add_f64 v[8:9], v[176:177], v[8:9]
	v_fma_f64 v[106:107], v[128:129], s[12:13], v[106:107]
	v_mul_f64 v[176:177], v[156:157], s[50:51]
	v_fma_f64 v[186:187], v[120:121], s[24:25], v[182:183]
	v_add_f64 v[184:185], v[2:3], v[184:185]
	v_add_f64 v[4:5], v[178:179], v[4:5]
	v_fma_f64 v[178:179], v[124:125], s[4:5], v[190:191]
	v_mul_f64 v[190:191], v[158:159], s[34:35]
	v_fma_f64 v[194:195], v[154:155], s[4:5], -v[180:181]
	v_fma_f64 v[188:189], v[162:163], s[6:7], v[198:199]
	v_mul_f64 v[198:199], v[150:151], s[44:45]
	v_fma_f64 v[200:201], v[118:119], s[18:19], v[176:177]
	v_add_f64 v[184:185], v[186:187], v[184:185]
	v_add_f64 v[4:5], v[106:107], v[4:5]
	v_fma_f64 v[106:107], v[166:167], s[22:23], v[192:193]
	v_mul_f64 v[186:187], v[152:153], s[50:51]
	v_fma_f64 v[192:193], v[148:149], s[24:25], -v[190:191]
	v_add_f64 v[194:195], v[0:1], v[194:195]
	v_fma_f64 v[204:205], v[116:117], s[16:17], v[198:199]
	v_fma_f64 v[10:11], v[122:123], s[4:5], -v[10:11]
	v_add_f64 v[184:185], v[200:201], v[184:185]
	v_add_f64 v[4:5], v[178:179], v[4:5]
	v_fma_f64 v[178:179], v[164:165], s[24:25], v[196:197]
	v_mul_f64 v[196:197], v[146:147], s[44:45]
	v_fma_f64 v[200:201], v[134:135], s[18:19], -v[186:187]
	v_add_f64 v[192:193], v[192:193], v[194:195]
	v_mul_f64 v[194:195], v[132:133], s[14:15]
	v_fma_f64 v[182:183], v[120:121], s[24:25], -v[182:183]
	v_add_f64 v[184:185], v[204:205], v[184:185]
	v_add_f64 v[4:5], v[106:107], v[4:5]
	v_mul_f64 v[106:107], v[144:145], s[48:49]
	v_fma_f64 v[204:205], v[128:129], s[16:17], -v[196:197]
	v_add_f64 v[10:11], v[2:3], v[10:11]
	v_add_f64 v[192:193], v[200:201], v[192:193]
	v_mul_f64 v[200:201], v[130:131], s[28:29]
	v_fma_f64 v[208:209], v[112:113], s[12:13], v[194:195]
	v_add_f64 v[184:185], v[206:207], v[184:185]
	v_mul_f64 v[206:207], v[140:141], s[14:15]
	v_fma_f64 v[210:211], v[124:125], s[6:7], -v[106:107]
	v_fma_f64 v[176:177], v[118:119], s[18:19], -v[176:177]
	v_add_f64 v[10:11], v[182:183], v[10:11]
	v_add_f64 v[192:193], v[204:205], v[192:193]
	v_mul_f64 v[204:205], v[126:127], s[36:37]
	v_fma_f64 v[212:213], v[110:111], s[10:11], v[200:201]
	v_add_f64 v[184:185], v[208:209], v[184:185]
	v_mul_f64 v[208:209], v[138:139], s[28:29]
	v_fma_f64 v[182:183], v[166:167], s[12:13], -v[206:207]
	v_add_f64 v[4:5], v[178:179], v[4:5]
	v_fma_f64 v[198:199], v[116:117], s[16:17], -v[198:199]
	v_add_f64 v[192:193], v[210:211], v[192:193]
	v_add_f64 v[10:11], v[176:177], v[10:11]
	v_fma_f64 v[210:211], v[108:109], s[22:23], v[204:205]
	v_add_f64 v[184:185], v[212:213], v[184:185]
	v_fma_f64 v[214:215], v[164:165], s[10:11], -v[208:209]
	v_add_f64 v[178:179], v[6:7], v[8:9]
	v_add_f64 v[176:177], v[188:189], v[4:5]
	v_fma_f64 v[4:5], v[114:115], s[6:7], -v[202:203]
	v_add_f64 v[192:193], v[182:183], v[192:193]
	v_mul_f64 v[6:7], v[170:171], s[20:21]
	v_add_f64 v[8:9], v[198:199], v[10:11]
	v_add_f64 v[182:183], v[210:211], v[184:185]
	v_fma_f64 v[180:181], v[154:155], s[4:5], v[180:181]
	v_fma_f64 v[188:189], v[108:109], s[22:23], -v[204:205]
	v_fma_f64 v[190:191], v[148:149], s[24:25], v[190:191]
	v_mul_f64 v[202:203], v[156:157], s[34:35]
	v_add_f64 v[184:185], v[214:215], v[192:193]
	v_fma_f64 v[192:193], v[112:113], s[12:13], -v[194:195]
	v_mul_f64 v[194:195], v[168:169], s[28:29]
	v_fma_f64 v[198:199], v[122:123], s[6:7], v[6:7]
	v_add_f64 v[4:5], v[4:5], v[8:9]
	v_fma_f64 v[8:9], v[110:111], s[10:11], -v[200:201]
	v_mul_f64 v[200:201], v[160:161], s[20:21]
	v_add_f64 v[180:181], v[0:1], v[180:181]
	v_fma_f64 v[186:187], v[134:135], s[18:19], v[186:187]
	v_mul_f64 v[214:215], v[150:151], s[38:39]
	v_fma_f64 v[204:205], v[120:121], s[10:11], v[194:195]
	v_add_f64 v[198:199], v[2:3], v[198:199]
	v_add_f64 v[4:5], v[192:193], v[4:5]
	v_mul_f64 v[192:193], v[158:159], s[28:29]
	v_fma_f64 v[210:211], v[154:155], s[6:7], -v[200:201]
	v_add_f64 v[180:181], v[190:191], v[180:181]
	v_fma_f64 v[190:191], v[118:119], s[24:25], v[202:203]
	v_fma_f64 v[196:197], v[128:129], s[16:17], v[196:197]
	;; [unrolled: 1-line block ×3, first 2 shown]
	v_add_f64 v[198:199], v[204:205], v[198:199]
	v_mul_f64 v[204:205], v[152:153], s[34:35]
	v_fma_f64 v[216:217], v[148:149], s[10:11], -v[192:193]
	v_add_f64 v[210:211], v[0:1], v[210:211]
	v_add_f64 v[180:181], v[186:187], v[180:181]
	v_fma_f64 v[186:187], v[116:117], s[18:19], v[214:215]
	v_add_f64 v[4:5], v[8:9], v[4:5]
	v_fma_f64 v[6:7], v[122:123], s[6:7], -v[6:7]
	v_add_f64 v[190:191], v[190:191], v[198:199]
	v_mul_f64 v[198:199], v[146:147], s[38:39]
	v_fma_f64 v[220:221], v[134:135], s[24:25], -v[204:205]
	v_add_f64 v[210:211], v[216:217], v[210:211]
	v_add_f64 v[180:181], v[196:197], v[180:181]
	v_mul_f64 v[196:197], v[132:133], s[44:45]
	v_fma_f64 v[216:217], v[114:115], s[22:23], v[218:219]
	v_fma_f64 v[208:209], v[164:165], s[10:11], v[208:209]
	v_add_f64 v[186:187], v[186:187], v[190:191]
	v_fma_f64 v[190:191], v[166:167], s[12:13], v[206:207]
	v_mul_f64 v[206:207], v[144:145], s[46:47]
	v_fma_f64 v[222:223], v[128:129], s[18:19], -v[198:199]
	v_add_f64 v[210:211], v[220:221], v[210:211]
	v_add_f64 v[106:107], v[106:107], v[180:181]
	v_fma_f64 v[180:181], v[112:113], s[16:17], v[196:197]
	v_mul_f64 v[220:221], v[130:131], s[42:43]
	v_add_f64 v[186:187], v[216:217], v[186:187]
	v_mul_f64 v[216:217], v[140:141], s[44:45]
	v_fma_f64 v[224:225], v[124:125], s[22:23], -v[206:207]
	v_add_f64 v[6:7], v[2:3], v[6:7]
	v_add_f64 v[210:211], v[222:223], v[210:211]
	v_add_f64 v[106:107], v[190:191], v[106:107]
	v_mul_f64 v[222:223], v[126:127], s[40:41]
	v_fma_f64 v[190:191], v[110:111], s[4:5], v[220:221]
	v_add_f64 v[180:181], v[180:181], v[186:187]
	v_fma_f64 v[186:187], v[166:167], s[16:17], -v[216:217]
	v_fma_f64 v[202:203], v[118:119], s[24:25], -v[202:203]
	v_mul_f64 v[212:213], v[136:137], s[36:37]
	v_add_f64 v[210:211], v[224:225], v[210:211]
	v_add_f64 v[106:107], v[208:209], v[106:107]
	v_fma_f64 v[208:209], v[108:109], s[12:13], v[222:223]
	v_mul_f64 v[8:9], v[138:139], s[42:43]
	v_add_f64 v[190:191], v[190:191], v[180:181]
	v_mul_f64 v[170:171], v[170:171], s[14:15]
	v_fma_f64 v[192:193], v[148:149], s[10:11], v[192:193]
	v_fma_f64 v[10:11], v[162:163], s[22:23], -v[212:213]
	v_add_f64 v[210:211], v[186:187], v[210:211]
	v_add_f64 v[186:187], v[188:189], v[4:5]
	v_fma_f64 v[4:5], v[120:121], s[10:11], -v[194:195]
	v_fma_f64 v[194:195], v[154:155], s[6:7], v[200:201]
	v_add_f64 v[190:191], v[208:209], v[190:191]
	v_fma_f64 v[208:209], v[116:117], s[18:19], -v[214:215]
	v_fma_f64 v[200:201], v[110:111], s[4:5], -v[220:221]
	v_fma_f64 v[212:213], v[162:163], s[22:23], v[212:213]
	v_fma_f64 v[226:227], v[164:165], s[4:5], -v[8:9]
	v_fma_f64 v[188:189], v[108:109], s[12:13], -v[222:223]
	v_add_f64 v[4:5], v[4:5], v[6:7]
	v_fma_f64 v[6:7], v[112:113], s[16:17], -v[196:197]
	v_fma_f64 v[196:197], v[114:115], s[22:23], -v[218:219]
	v_add_f64 v[194:195], v[0:1], v[194:195]
	v_add_f64 v[180:181], v[10:11], v[184:185]
	;; [unrolled: 1-line block ×4, first 2 shown]
	v_mul_f64 v[168:169], v[168:169], s[20:21]
	v_add_f64 v[4:5], v[202:203], v[4:5]
	v_fma_f64 v[210:211], v[122:123], s[12:13], v[170:171]
	v_fma_f64 v[202:203], v[134:135], s[24:25], v[204:205]
	v_add_f64 v[192:193], v[192:193], v[194:195]
	v_mul_f64 v[156:157], v[156:157], s[26:27]
	v_fma_f64 v[198:199], v[128:129], s[18:19], v[198:199]
	v_fma_f64 v[122:123], v[122:123], s[12:13], -v[170:171]
	v_fma_f64 v[194:195], v[120:121], s[6:7], v[168:169]
	v_add_f64 v[4:5], v[208:209], v[4:5]
	v_add_f64 v[204:205], v[2:3], v[210:211]
	v_mul_f64 v[130:131], v[158:159], s[20:21]
	v_add_f64 v[64:65], v[202:203], v[192:193]
	v_fma_f64 v[150:151], v[118:119], s[4:5], v[156:157]
	v_fma_f64 v[8:9], v[164:165], s[4:5], v[8:9]
	v_fma_f64 v[120:121], v[120:121], s[6:7], -v[168:169]
	v_add_f64 v[2:3], v[2:3], v[122:123]
	v_add_f64 v[4:5], v[196:197], v[4:5]
	;; [unrolled: 1-line block ×3, first 2 shown]
	v_fma_f64 v[194:195], v[124:125], s[22:23], v[206:207]
	v_add_f64 v[60:61], v[198:199], v[64:65]
	v_fma_f64 v[64:65], v[116:117], s[10:11], v[66:67]
	v_fma_f64 v[122:123], v[148:149], s[6:7], v[130:131]
	v_mul_f64 v[224:225], v[136:137], s[40:41]
	v_add_f64 v[2:3], v[120:121], v[2:3]
	v_add_f64 v[4:5], v[6:7], v[4:5]
	;; [unrolled: 1-line block ×3, first 2 shown]
	v_fma_f64 v[6:7], v[166:167], s[16:17], v[216:217]
	v_add_f64 v[48:49], v[194:195], v[60:61]
	v_fma_f64 v[60:61], v[114:115], s[16:17], v[62:63]
	v_fma_f64 v[10:11], v[162:163], s[12:13], -v[224:225]
	v_add_f64 v[4:5], v[200:201], v[4:5]
	v_add_f64 v[64:65], v[64:65], v[142:143]
	;; [unrolled: 1-line block ×3, first 2 shown]
	v_fma_f64 v[48:49], v[112:113], s[24:25], v[50:51]
	v_add_f64 v[36:37], v[188:189], v[4:5]
	v_add_f64 v[4:5], v[38:39], v[54:55]
	;; [unrolled: 1-line block ×5, first 2 shown]
	v_mul_f64 v[6:7], v[126:127], s[38:39]
	v_mul_f64 v[126:127], v[146:147], s[28:29]
	;; [unrolled: 1-line block ×4, first 2 shown]
	v_add_f64 v[4:5], v[4:5], v[58:59]
	v_add_f64 v[38:39], v[38:39], v[56:57]
	v_mul_f64 v[56:57], v[160:161], s[14:15]
	v_add_f64 v[48:49], v[48:49], v[60:61]
	v_mul_f64 v[60:61], v[144:145], s[30:31]
	v_mul_f64 v[58:59], v[140:141], s[34:35]
	v_fma_f64 v[40:41], v[110:111], s[22:23], v[42:43]
	v_fma_f64 v[64:65], v[162:163], s[12:13], v[224:225]
	v_add_f64 v[4:5], v[4:5], v[46:47]
	v_add_f64 v[38:39], v[38:39], v[44:45]
	v_fma_f64 v[44:45], v[154:155], s[12:13], v[56:57]
	v_fma_f64 v[56:57], v[154:155], s[12:13], -v[56:57]
	v_mul_f64 v[46:47], v[152:153], s[26:27]
	v_add_f64 v[188:189], v[10:11], v[106:107]
	v_add_f64 v[4:5], v[4:5], v[34:35]
	;; [unrolled: 1-line block ×4, first 2 shown]
	v_fma_f64 v[38:39], v[148:149], s[6:7], -v[130:131]
	v_add_f64 v[0:1], v[0:1], v[56:57]
	v_fma_f64 v[44:45], v[118:119], s[4:5], -v[156:157]
	v_fma_f64 v[56:57], v[134:135], s[4:5], v[46:47]
	v_add_f64 v[4:5], v[4:5], v[30:31]
	v_add_f64 v[28:29], v[32:33], v[28:29]
	v_add_f64 v[30:31], v[122:123], v[34:35]
	v_fma_f64 v[32:33], v[134:135], s[4:5], -v[46:47]
	v_add_f64 v[0:1], v[38:39], v[0:1]
	v_fma_f64 v[34:35], v[116:117], s[10:11], -v[66:67]
	v_add_f64 v[2:3], v[44:45], v[2:3]
	v_fma_f64 v[38:39], v[128:129], s[10:11], v[126:127]
	v_add_f64 v[4:5], v[4:5], v[26:27]
	v_add_f64 v[24:25], v[28:29], v[24:25]
	v_add_f64 v[26:27], v[56:57], v[30:31]
	v_fma_f64 v[28:29], v[128:129], s[10:11], -v[126:127]
	v_add_f64 v[0:1], v[32:33], v[0:1]
	v_fma_f64 v[30:31], v[114:115], s[16:17], -v[62:63]
	v_add_f64 v[2:3], v[34:35], v[2:3]
	;; [unrolled: 8-line block ×5, first 2 shown]
	v_fma_f64 v[20:21], v[162:163], s[18:19], v[52:53]
	v_add_f64 v[4:5], v[4:5], v[234:235]
	v_add_f64 v[12:13], v[12:13], v[232:233]
	;; [unrolled: 1-line block ×3, first 2 shown]
	v_fma_f64 v[22:23], v[108:109], s[18:19], v[6:7]
	v_add_f64 v[24:25], v[40:41], v[48:49]
	v_fma_f64 v[26:27], v[162:163], s[18:19], -v[52:53]
	v_add_f64 v[16:17], v[16:17], v[0:1]
	v_add_f64 v[2:3], v[18:19], v[2:3]
	;; [unrolled: 1-line block ×6, first 2 shown]
	v_mul_u32_u24_e32 v12, 0x110, v175
	v_add3_u32 v12, 0, v12, v174
	v_add_f64 v[10:11], v[22:23], v[24:25]
	v_add_f64 v[8:9], v[26:27], v[16:17]
	ds_write_b128 v12, v[4:7]
	ds_write_b128 v12, v[0:3] offset:16
	ds_write_b128 v12, v[34:37] offset:32
	;; [unrolled: 1-line block ×16, first 2 shown]
.LBB0_18:
	s_or_b64 exec, exec, s[56:57]
	v_lshlrev_b32_e32 v0, 1, v104
	v_mov_b32_e32 v1, 0
	v_lshlrev_b64 v[2:3], 4, v[0:1]
	v_mov_b32_e32 v0, s9
	v_add_co_u32_e32 v2, vcc, s8, v2
	v_addc_co_u32_e32 v3, vcc, v0, v3, vcc
	s_waitcnt lgkmcnt(0)
	; wave barrier
	s_waitcnt lgkmcnt(0)
	global_load_dwordx4 v[8:11], v[2:3], off
	global_load_dwordx4 v[12:15], v[2:3], off offset:16
	v_add_u16_e32 v2, 34, v104
	s_movk_i32 s4, 0xf1
	v_mul_lo_u16_sdwa v3, v2, s4 dst_sel:DWORD dst_unused:UNUSED_PAD src0_sel:BYTE_0 src1_sel:DWORD
	v_lshrrev_b16_e32 v3, 12, v3
	v_mul_lo_u16_e32 v3, 17, v3
	v_sub_u16_e32 v2, v2, v3
	v_mov_b32_e32 v56, 5
	v_lshlrev_b32_sdwa v3, v56, v2 dst_sel:DWORD dst_unused:UNUSED_PAD src0_sel:DWORD src1_sel:BYTE_0
	global_load_dwordx4 v[16:19], v3, s[8:9]
	global_load_dwordx4 v[20:23], v3, s[8:9] offset:16
	v_add_u16_e32 v3, 51, v104
	v_mul_lo_u16_sdwa v4, v3, s4 dst_sel:DWORD dst_unused:UNUSED_PAD src0_sel:BYTE_0 src1_sel:DWORD
	v_lshrrev_b16_e32 v4, 12, v4
	v_mul_lo_u16_e32 v4, 17, v4
	v_sub_u16_e32 v3, v3, v4
	v_lshlrev_b32_sdwa v4, v56, v3 dst_sel:DWORD dst_unused:UNUSED_PAD src0_sel:DWORD src1_sel:BYTE_0
	global_load_dwordx4 v[24:27], v4, s[8:9] offset:16
	global_load_dwordx4 v[28:31], v4, s[8:9]
	v_add_u16_e32 v4, 0x44, v104
	v_mul_lo_u16_sdwa v5, v4, s4 dst_sel:DWORD dst_unused:UNUSED_PAD src0_sel:BYTE_0 src1_sel:DWORD
	v_lshrrev_b16_e32 v5, 12, v5
	v_mul_lo_u16_e32 v5, 17, v5
	v_sub_u16_e32 v4, v4, v5
	v_lshlrev_b32_sdwa v5, v56, v4 dst_sel:DWORD dst_unused:UNUSED_PAD src0_sel:DWORD src1_sel:BYTE_0
	global_load_dwordx4 v[32:35], v5, s[8:9]
	global_load_dwordx4 v[36:39], v5, s[8:9] offset:16
	v_add_u16_e32 v5, 0x55, v104
	v_mul_lo_u16_sdwa v6, v5, s4 dst_sel:DWORD dst_unused:UNUSED_PAD src0_sel:BYTE_0 src1_sel:DWORD
	v_lshrrev_b16_e32 v6, 12, v6
	v_mul_lo_u16_e32 v6, 17, v6
	v_sub_u16_e32 v5, v5, v6
	v_lshlrev_b32_sdwa v6, v56, v5 dst_sel:DWORD dst_unused:UNUSED_PAD src0_sel:DWORD src1_sel:BYTE_0
	global_load_dwordx4 v[40:43], v6, s[8:9] offset:16
	global_load_dwordx4 v[44:47], v6, s[8:9]
	v_add_u16_e32 v6, 0x66, v104
	v_mul_lo_u16_sdwa v7, v6, s4 dst_sel:DWORD dst_unused:UNUSED_PAD src0_sel:BYTE_0 src1_sel:DWORD
	v_lshrrev_b16_e32 v7, 12, v7
	v_mul_lo_u16_e32 v7, 17, v7
	v_sub_u16_e32 v6, v6, v7
	v_lshlrev_b32_sdwa v7, v56, v6 dst_sel:DWORD dst_unused:UNUSED_PAD src0_sel:DWORD src1_sel:BYTE_0
	global_load_dwordx4 v[48:51], v7, s[8:9]
	global_load_dwordx4 v[52:55], v7, s[8:9] offset:16
	v_add_u16_e32 v7, 0x77, v104
	v_mul_lo_u16_sdwa v57, v7, s4 dst_sel:DWORD dst_unused:UNUSED_PAD src0_sel:BYTE_0 src1_sel:DWORD
	v_lshrrev_b16_e32 v57, 12, v57
	v_mul_lo_u16_e32 v57, 17, v57
	v_sub_u16_e32 v7, v7, v57
	v_lshlrev_b32_sdwa v64, v56, v7 dst_sel:DWORD dst_unused:UNUSED_PAD src0_sel:DWORD src1_sel:BYTE_0
	global_load_dwordx4 v[56:59], v64, s[8:9]
	global_load_dwordx4 v[60:63], v64, s[8:9] offset:16
	ds_read_b128 v[64:67], v173
	ds_read_b128 v[68:71], v105 offset:272
	ds_read_b128 v[72:75], v105 offset:2176
	;; [unrolled: 1-line block ×23, first 2 shown]
	s_mov_b32 s4, 0xe8584caa
	s_mov_b32 s5, 0xbfebb67a
	;; [unrolled: 1-line block ×4, first 2 shown]
	s_waitcnt lgkmcnt(0)
	; wave barrier
	s_waitcnt vmcnt(13) lgkmcnt(0)
	v_mul_f64 v[106:107], v[74:75], v[10:11]
	v_mul_f64 v[164:165], v[72:73], v[10:11]
	;; [unrolled: 1-line block ×4, first 2 shown]
	s_waitcnt vmcnt(12)
	v_mul_f64 v[166:167], v[82:83], v[14:15]
	v_mul_f64 v[168:169], v[80:81], v[14:15]
	v_fma_f64 v[72:73], v[72:73], v[8:9], v[106:107]
	v_fma_f64 v[74:75], v[74:75], v[8:9], -v[164:165]
	v_mul_f64 v[106:107], v[86:87], v[14:15]
	v_mul_f64 v[14:15], v[84:85], v[14:15]
	s_waitcnt vmcnt(11)
	v_mul_f64 v[164:165], v[98:99], v[18:19]
	v_mul_f64 v[18:19], v[96:97], v[18:19]
	v_fma_f64 v[76:77], v[76:77], v[8:9], v[170:171]
	v_fma_f64 v[78:79], v[78:79], v[8:9], -v[10:11]
	s_waitcnt vmcnt(10)
	v_mul_f64 v[8:9], v[110:111], v[22:23]
	v_mul_f64 v[10:11], v[108:109], v[22:23]
	v_fma_f64 v[80:81], v[80:81], v[12:13], v[166:167]
	v_fma_f64 v[82:83], v[82:83], v[12:13], -v[168:169]
	v_fma_f64 v[84:85], v[84:85], v[12:13], v[106:107]
	v_fma_f64 v[86:87], v[86:87], v[12:13], -v[14:15]
	v_fma_f64 v[96:97], v[96:97], v[16:17], v[164:165]
	v_fma_f64 v[98:99], v[98:99], v[16:17], -v[18:19]
	s_waitcnt vmcnt(8)
	v_mul_f64 v[12:13], v[102:103], v[30:31]
	v_fma_f64 v[106:107], v[108:109], v[20:21], v[8:9]
	v_mul_f64 v[8:9], v[114:115], v[26:27]
	v_mul_f64 v[16:17], v[112:113], v[26:27]
	s_waitcnt vmcnt(7)
	v_mul_f64 v[18:19], v[126:127], v[34:35]
	v_fma_f64 v[108:109], v[110:111], v[20:21], -v[10:11]
	v_mul_f64 v[10:11], v[124:125], v[34:35]
	v_mul_f64 v[14:15], v[100:101], v[30:31]
	v_fma_f64 v[100:101], v[100:101], v[28:29], v[12:13]
	s_waitcnt vmcnt(6)
	v_mul_f64 v[12:13], v[134:135], v[38:39]
	v_fma_f64 v[110:111], v[112:113], v[24:25], v[8:9]
	v_fma_f64 v[112:113], v[114:115], v[24:25], -v[16:17]
	v_fma_f64 v[114:115], v[124:125], v[32:33], v[18:19]
	v_mul_f64 v[8:9], v[132:133], v[38:39]
	v_fma_f64 v[124:125], v[126:127], v[32:33], -v[10:11]
	s_waitcnt vmcnt(4)
	v_mul_f64 v[10:11], v[130:131], v[46:47]
	v_fma_f64 v[102:103], v[102:103], v[28:29], -v[14:15]
	v_mul_f64 v[14:15], v[128:129], v[46:47]
	v_fma_f64 v[126:127], v[132:133], v[36:37], v[12:13]
	v_mul_f64 v[12:13], v[138:139], v[42:43]
	v_mul_f64 v[16:17], v[136:137], v[42:43]
	s_waitcnt vmcnt(3)
	v_mul_f64 v[18:19], v[150:151], v[50:51]
	v_fma_f64 v[132:133], v[134:135], v[36:37], -v[8:9]
	v_mul_f64 v[8:9], v[148:149], v[50:51]
	v_fma_f64 v[128:129], v[128:129], v[44:45], v[10:11]
	s_waitcnt vmcnt(2)
	v_mul_f64 v[10:11], v[158:159], v[54:55]
	v_fma_f64 v[130:131], v[130:131], v[44:45], -v[14:15]
	v_fma_f64 v[134:135], v[136:137], v[40:41], v[12:13]
	v_fma_f64 v[136:137], v[138:139], v[40:41], -v[16:17]
	v_fma_f64 v[138:139], v[148:149], v[48:49], v[18:19]
	v_mul_f64 v[12:13], v[156:157], v[54:55]
	v_fma_f64 v[148:149], v[150:151], v[48:49], -v[8:9]
	s_waitcnt vmcnt(1)
	v_mul_f64 v[8:9], v[154:155], v[58:59]
	v_fma_f64 v[150:151], v[156:157], v[52:53], v[10:11]
	v_mul_f64 v[10:11], v[152:153], v[58:59]
	v_add_f64 v[14:15], v[72:73], v[80:81]
	s_waitcnt vmcnt(0)
	v_mul_f64 v[16:17], v[162:163], v[62:63]
	v_mul_f64 v[18:19], v[160:161], v[62:63]
	v_add_f64 v[32:33], v[96:97], v[106:107]
	v_add_f64 v[38:39], v[88:89], v[96:97]
	v_fma_f64 v[156:157], v[158:159], v[52:53], -v[12:13]
	v_add_f64 v[12:13], v[64:65], v[72:73]
	v_fma_f64 v[154:155], v[154:155], v[56:57], -v[10:11]
	v_add_f64 v[10:11], v[74:75], v[82:83]
	v_fma_f64 v[152:153], v[152:153], v[56:57], v[8:9]
	v_fma_f64 v[14:15], v[14:15], -0.5, v[64:65]
	v_add_f64 v[20:21], v[74:75], -v[82:83]
	v_fma_f64 v[158:159], v[160:161], v[60:61], v[16:17]
	v_fma_f64 v[160:161], v[162:163], v[60:61], -v[18:19]
	v_add_f64 v[18:19], v[66:67], v[74:75]
	v_add_f64 v[22:23], v[76:77], v[84:85]
	v_fma_f64 v[24:25], v[10:11], -0.5, v[66:67]
	v_add_f64 v[26:27], v[72:73], -v[80:81]
	v_add_f64 v[28:29], v[78:79], v[86:87]
	v_add_f64 v[40:41], v[98:99], v[108:109]
	v_fma_f64 v[42:43], v[32:33], -0.5, v[88:89]
	v_add_f64 v[32:33], v[38:39], v[106:107]
	v_add_f64 v[38:39], v[100:101], v[110:111]
	v_add_f64 v[50:51], v[102:103], v[112:113]
	v_add_f64 v[56:57], v[114:115], v[126:127]
	v_add_f64 v[8:9], v[12:13], v[80:81]
	v_fma_f64 v[12:13], v[20:21], s[4:5], v[14:15]
	v_fma_f64 v[16:17], v[20:21], s[6:7], v[14:15]
	v_add_f64 v[20:21], v[68:69], v[76:77]
	v_add_f64 v[10:11], v[18:19], v[82:83]
	v_fma_f64 v[22:23], v[22:23], -0.5, v[68:69]
	v_add_f64 v[30:31], v[78:79], -v[86:87]
	v_fma_f64 v[14:15], v[26:27], s[6:7], v[24:25]
	v_fma_f64 v[18:19], v[26:27], s[4:5], v[24:25]
	v_add_f64 v[26:27], v[70:71], v[78:79]
	v_fma_f64 v[34:35], v[28:29], -0.5, v[70:71]
	v_add_f64 v[36:37], v[76:77], -v[84:85]
	v_add_f64 v[44:45], v[98:99], -v[108:109]
	v_fma_f64 v[46:47], v[40:41], -0.5, v[90:91]
	v_add_f64 v[48:49], v[96:97], -v[106:107]
	v_fma_f64 v[52:53], v[38:39], -0.5, v[92:93]
	;; [unrolled: 2-line block ×3, first 2 shown]
	v_add_f64 v[60:61], v[100:101], -v[110:111]
	v_add_f64 v[62:63], v[116:117], v[114:115]
	v_add_f64 v[64:65], v[124:125], v[132:133]
	v_fma_f64 v[66:67], v[56:57], -0.5, v[116:117]
	v_add_f64 v[68:69], v[124:125], -v[132:133]
	v_fma_f64 v[24:25], v[30:31], s[4:5], v[22:23]
	v_fma_f64 v[28:29], v[30:31], s[6:7], v[22:23]
	v_add_f64 v[22:23], v[26:27], v[86:87]
	v_fma_f64 v[26:27], v[36:37], s[6:7], v[34:35]
	v_fma_f64 v[30:31], v[36:37], s[4:5], v[34:35]
	v_fma_f64 v[36:37], v[44:45], s[4:5], v[42:43]
	v_fma_f64 v[40:41], v[44:45], s[6:7], v[42:43]
	v_fma_f64 v[38:39], v[48:49], s[6:7], v[46:47]
	v_fma_f64 v[42:43], v[48:49], s[4:5], v[46:47]
	v_fma_f64 v[48:49], v[54:55], s[4:5], v[52:53]
	v_fma_f64 v[52:53], v[54:55], s[6:7], v[52:53]
	v_fma_f64 v[50:51], v[60:61], s[6:7], v[58:59]
	v_add_f64 v[70:71], v[118:119], v[124:125]
	v_fma_f64 v[54:55], v[60:61], s[4:5], v[58:59]
	v_add_f64 v[56:57], v[62:63], v[126:127]
	v_add_f64 v[62:63], v[128:129], v[134:135]
	v_fma_f64 v[72:73], v[64:65], -0.5, v[118:119]
	v_add_f64 v[74:75], v[114:115], -v[126:127]
	v_fma_f64 v[60:61], v[68:69], s[4:5], v[66:67]
	v_fma_f64 v[64:65], v[68:69], s[6:7], v[66:67]
	v_add_f64 v[68:69], v[130:131], v[136:137]
	v_add_f64 v[80:81], v[138:139], v[150:151]
	v_add_f64 v[20:21], v[20:21], v[84:85]
	v_add_f64 v[58:59], v[70:71], v[132:133]
	v_add_f64 v[70:71], v[120:121], v[128:129]
	v_fma_f64 v[76:77], v[62:63], -0.5, v[120:121]
	v_add_f64 v[78:79], v[130:131], -v[136:137]
	v_fma_f64 v[62:63], v[74:75], s[6:7], v[72:73]
	v_fma_f64 v[66:67], v[74:75], s[4:5], v[72:73]
	v_add_f64 v[74:75], v[122:123], v[130:131]
	v_fma_f64 v[82:83], v[68:69], -0.5, v[122:123]
	v_add_f64 v[84:85], v[128:129], -v[134:135]
	v_add_f64 v[86:87], v[140:141], v[138:139]
	v_add_f64 v[34:35], v[90:91], v[98:99]
	v_fma_f64 v[88:89], v[80:81], -0.5, v[140:141]
	v_add_f64 v[90:91], v[148:149], -v[156:157]
	v_add_f64 v[44:45], v[92:93], v[100:101]
	v_add_f64 v[92:93], v[148:149], v[156:157]
	;; [unrolled: 1-line block ×4, first 2 shown]
	v_fma_f64 v[72:73], v[78:79], s[4:5], v[76:77]
	v_fma_f64 v[76:77], v[78:79], s[6:7], v[76:77]
	v_add_f64 v[70:71], v[74:75], v[136:137]
	v_fma_f64 v[74:75], v[84:85], s[6:7], v[82:83]
	v_fma_f64 v[78:79], v[84:85], s[4:5], v[82:83]
	v_add_f64 v[80:81], v[86:87], v[150:151]
	v_add_f64 v[82:83], v[152:153], v[158:159]
	;; [unrolled: 1-line block ×4, first 2 shown]
	v_fma_f64 v[84:85], v[90:91], s[4:5], v[88:89]
	v_fma_f64 v[88:89], v[90:91], s[6:7], v[88:89]
	v_add_f64 v[90:91], v[142:143], v[148:149]
	v_fma_f64 v[92:93], v[92:93], -0.5, v[142:143]
	v_add_f64 v[94:95], v[138:139], -v[150:151]
	v_add_f64 v[44:45], v[44:45], v[110:111]
	v_add_f64 v[46:47], v[46:47], v[112:113]
	;; [unrolled: 1-line block ×4, first 2 shown]
	v_fma_f64 v[98:99], v[82:83], -0.5, v[144:145]
	v_add_f64 v[100:101], v[154:155], -v[160:161]
	v_fma_f64 v[106:107], v[86:87], -0.5, v[146:147]
	v_add_f64 v[108:109], v[152:153], -v[158:159]
	ds_write_b128 v105, v[8:11]
	ds_write_b128 v105, v[12:15] offset:272
	ds_write_b128 v105, v[16:19] offset:544
	;; [unrolled: 1-line block ×5, first 2 shown]
	v_mov_b32_e32 v8, 4
	v_lshlrev_b32_sdwa v2, v8, v2 dst_sel:DWORD dst_unused:UNUSED_PAD src0_sel:DWORD src1_sel:BYTE_0
	v_add3_u32 v2, 0, v2, v174
	v_add_f64 v[82:83], v[90:91], v[156:157]
	ds_write_b128 v2, v[32:35] offset:1632
	ds_write_b128 v2, v[36:39] offset:1904
	;; [unrolled: 1-line block ×3, first 2 shown]
	v_lshlrev_b32_sdwa v2, v8, v3 dst_sel:DWORD dst_unused:UNUSED_PAD src0_sel:DWORD src1_sel:BYTE_0
	v_fma_f64 v[86:87], v[94:95], s[6:7], v[92:93]
	v_add3_u32 v2, 0, v2, v174
	v_fma_f64 v[90:91], v[94:95], s[4:5], v[92:93]
	v_add_f64 v[92:93], v[96:97], v[158:159]
	v_add_f64 v[94:95], v[102:103], v[160:161]
	ds_write_b128 v2, v[44:47] offset:2448
	ds_write_b128 v2, v[48:51] offset:2720
	;; [unrolled: 1-line block ×3, first 2 shown]
	v_lshlrev_b32_sdwa v2, v8, v4 dst_sel:DWORD dst_unused:UNUSED_PAD src0_sel:DWORD src1_sel:BYTE_0
	v_fma_f64 v[96:97], v[100:101], s[4:5], v[98:99]
	v_fma_f64 v[100:101], v[100:101], s[6:7], v[98:99]
	;; [unrolled: 1-line block ×3, first 2 shown]
	v_add3_u32 v2, 0, v2, v174
	v_fma_f64 v[102:103], v[108:109], s[4:5], v[106:107]
	ds_write_b128 v2, v[56:59] offset:3264
	ds_write_b128 v2, v[60:63] offset:3536
	ds_write_b128 v2, v[64:67] offset:3808
	v_lshlrev_b32_sdwa v2, v8, v5 dst_sel:DWORD dst_unused:UNUSED_PAD src0_sel:DWORD src1_sel:BYTE_0
	v_add3_u32 v2, 0, v2, v174
	ds_write_b128 v2, v[68:71] offset:4080
	ds_write_b128 v2, v[72:75] offset:4352
	ds_write_b128 v2, v[76:79] offset:4624
	v_lshlrev_b32_sdwa v2, v8, v6 dst_sel:DWORD dst_unused:UNUSED_PAD src0_sel:DWORD src1_sel:BYTE_0
	v_add3_u32 v2, 0, v2, v174
	;; [unrolled: 5-line block ×3, first 2 shown]
	ds_write_b128 v2, v[92:95] offset:5712
	ds_write_b128 v2, v[96:99] offset:5984
	;; [unrolled: 1-line block ×3, first 2 shown]
	v_mul_u32_u24_e32 v2, 7, v104
	v_lshlrev_b32_e32 v58, 4, v2
	s_waitcnt lgkmcnt(0)
	; wave barrier
	s_waitcnt lgkmcnt(0)
	global_load_dwordx4 v[2:5], v58, s[8:9] offset:544
	global_load_dwordx4 v[6:9], v58, s[8:9] offset:560
	;; [unrolled: 1-line block ×14, first 2 shown]
	v_add_co_u32_e32 v59, vcc, s8, v58
	v_addc_co_u32_e32 v0, vcc, 0, v0, vcc
	s_movk_i32 s4, 0x770
	v_add_co_u32_e32 v102, vcc, s4, v59
	v_addc_co_u32_e32 v103, vcc, 0, v0, vcc
	global_load_dwordx4 v[58:61], v[102:103], off offset:2464
	global_load_dwordx4 v[62:65], v[102:103], off offset:2448
	ds_read_b128 v[66:69], v173
	ds_read_b128 v[70:73], v105 offset:272
	ds_read_b128 v[74:77], v105 offset:1632
	;; [unrolled: 1-line block ×9, first 2 shown]
	global_load_dwordx4 v[112:115], v[102:103], off offset:2496
	global_load_dwordx4 v[116:119], v[102:103], off offset:2480
	ds_read_b128 v[120:123], v105 offset:1088
	ds_read_b128 v[124:127], v105 offset:1360
	global_load_dwordx4 v[128:131], v[102:103], off offset:2528
	global_load_dwordx4 v[132:135], v[102:103], off offset:2512
	ds_read_b128 v[136:139], v105 offset:2448
	ds_read_b128 v[140:143], v105 offset:2176
	;; [unrolled: 1-line block ×12, first 2 shown]
	s_mov_b32 s4, 0x667f3bcd
	s_mov_b32 s5, 0xbfe6a09e
	;; [unrolled: 1-line block ×4, first 2 shown]
	s_waitcnt vmcnt(19) lgkmcnt(14)
	v_mul_f64 v[106:107], v[100:101], v[4:5]
	v_mul_f64 v[4:5], v[98:99], v[4:5]
	s_waitcnt vmcnt(18)
	v_mul_f64 v[185:186], v[76:77], v[8:9]
	v_mul_f64 v[8:9], v[74:75], v[8:9]
	s_waitcnt vmcnt(17) lgkmcnt(11)
	v_mul_f64 v[187:188], v[138:139], v[12:13]
	v_mul_f64 v[12:13], v[136:137], v[12:13]
	v_fma_f64 v[98:99], v[98:99], v[2:3], v[106:107]
	v_fma_f64 v[100:101], v[100:101], v[2:3], -v[4:5]
	s_waitcnt vmcnt(16)
	v_mul_f64 v[2:3], v[84:85], v[16:17]
	v_mul_f64 v[4:5], v[82:83], v[16:17]
	v_fma_f64 v[74:75], v[74:75], v[6:7], v[185:186]
	v_fma_f64 v[6:7], v[76:77], v[6:7], -v[8:9]
	v_fma_f64 v[8:9], v[136:137], v[10:11], v[187:188]
	v_fma_f64 v[10:11], v[138:139], v[10:11], -v[12:13]
	s_waitcnt vmcnt(15) lgkmcnt(7)
	v_mul_f64 v[12:13], v[154:155], v[20:21]
	v_mul_f64 v[16:17], v[152:153], v[20:21]
	v_fma_f64 v[82:83], v[82:83], v[14:15], v[2:3]
	v_fma_f64 v[14:15], v[84:85], v[14:15], -v[4:5]
	global_load_dwordx4 v[2:5], v[102:103], off offset:2544
	s_waitcnt vmcnt(15)
	v_mul_f64 v[20:21], v[92:93], v[24:25]
	v_mul_f64 v[24:25], v[90:91], v[24:25]
	s_waitcnt vmcnt(14) lgkmcnt(3)
	v_mul_f64 v[76:77], v[170:171], v[28:29]
	v_mul_f64 v[28:29], v[168:169], v[28:29]
	v_fma_f64 v[12:13], v[152:153], v[18:19], v[12:13]
	v_fma_f64 v[16:17], v[154:155], v[18:19], -v[16:17]
	s_waitcnt vmcnt(10)
	v_mul_f64 v[84:85], v[88:89], v[44:45]
	v_mul_f64 v[44:45], v[86:87], v[44:45]
	v_fma_f64 v[18:19], v[90:91], v[22:23], v[20:21]
	v_fma_f64 v[20:21], v[92:93], v[22:23], -v[24:25]
	v_fma_f64 v[22:23], v[168:169], v[26:27], v[76:77]
	v_fma_f64 v[24:25], v[170:171], v[26:27], -v[28:29]
	v_mul_f64 v[26:27], v[122:123], v[32:33]
	v_mul_f64 v[28:29], v[120:121], v[32:33]
	;; [unrolled: 1-line block ×6, first 2 shown]
	v_add_f64 v[18:19], v[74:75], -v[18:19]
	v_add_f64 v[20:21], v[6:7], -v[20:21]
	v_fma_f64 v[26:27], v[120:121], v[30:31], v[26:27]
	v_fma_f64 v[28:29], v[122:123], v[30:31], -v[28:29]
	v_fma_f64 v[30:31], v[78:79], v[34:35], v[32:33]
	v_fma_f64 v[32:33], v[80:81], v[34:35], -v[36:37]
	;; [unrolled: 2-line block ×4, first 2 shown]
	s_waitcnt vmcnt(7)
	v_mul_f64 v[42:43], v[162:163], v[56:57]
	v_mul_f64 v[44:45], v[160:161], v[56:57]
	;; [unrolled: 1-line block ×4, first 2 shown]
	s_waitcnt lgkmcnt(1)
	v_mul_f64 v[76:77], v[179:180], v[48:49]
	v_mul_f64 v[48:49], v[177:178], v[48:49]
	v_add_f64 v[12:13], v[98:99], -v[12:13]
	v_add_f64 v[16:17], v[100:101], -v[16:17]
	v_fma_f64 v[42:43], v[160:161], v[54:55], v[42:43]
	v_fma_f64 v[44:45], v[162:163], v[54:55], -v[44:45]
	v_fma_f64 v[54:55], v[94:95], v[50:51], v[56:57]
	v_fma_f64 v[50:51], v[96:97], v[50:51], -v[52:53]
	;; [unrolled: 2-line block ×3, first 2 shown]
	s_waitcnt vmcnt(6)
	v_mul_f64 v[48:49], v[142:143], v[60:61]
	v_mul_f64 v[56:57], v[140:141], v[60:61]
	v_add_f64 v[24:25], v[10:11], -v[24:25]
	v_add_f64 v[14:15], v[68:69], -v[14:15]
	v_add_f64 v[22:23], v[8:9], -v[22:23]
	v_fma_f64 v[74:75], v[74:75], 2.0, -v[18:19]
	v_fma_f64 v[92:93], v[100:101], 2.0, -v[16:17]
	;; [unrolled: 1-line block ×3, first 2 shown]
	v_fma_f64 v[88:89], v[140:141], v[58:59], v[48:49]
	v_fma_f64 v[90:91], v[142:143], v[58:59], -v[56:57]
	v_add_f64 v[58:59], v[66:67], -v[82:83]
	v_fma_f64 v[82:83], v[98:99], 2.0, -v[12:13]
	v_fma_f64 v[10:11], v[10:11], 2.0, -v[24:25]
	v_add_f64 v[98:99], v[12:13], v[24:25]
	v_fma_f64 v[68:69], v[68:69], 2.0, -v[14:15]
	v_fma_f64 v[8:9], v[8:9], 2.0, -v[22:23]
	v_add_f64 v[96:97], v[14:15], -v[18:19]
	v_add_f64 v[100:101], v[16:17], -v[22:23]
	v_fma_f64 v[66:67], v[66:67], 2.0, -v[58:59]
	v_add_f64 v[94:95], v[58:59], v[20:21]
	v_add_f64 v[20:21], v[92:93], -v[10:11]
	v_fma_f64 v[10:11], v[12:13], 2.0, -v[98:99]
	s_waitcnt vmcnt(2)
	v_mul_f64 v[48:49], v[175:176], v[130:131]
	v_add_f64 v[22:23], v[82:83], -v[8:9]
	v_mul_f64 v[78:79], v[126:127], v[64:65]
	v_fma_f64 v[8:9], v[16:17], 2.0, -v[100:101]
	v_add_f64 v[24:25], v[66:67], -v[74:75]
	v_fma_f64 v[18:19], v[58:59], 2.0, -v[94:95]
	v_add_f64 v[74:75], v[68:69], -v[6:7]
	v_fma_f64 v[58:59], v[14:15], 2.0, -v[96:97]
	v_mul_f64 v[56:57], v[173:174], v[130:131]
	v_add_f64 v[38:39], v[70:71], -v[38:39]
	v_add_f64 v[40:41], v[72:73], -v[40:41]
	;; [unrolled: 1-line block ×3, first 2 shown]
	v_fma_f64 v[12:13], v[66:67], 2.0, -v[24:25]
	v_fma_f64 v[66:67], v[10:11], s[4:5], v[18:19]
	v_fma_f64 v[14:15], v[68:69], 2.0, -v[74:75]
	v_fma_f64 v[68:69], v[8:9], s[4:5], v[58:59]
	v_add_f64 v[42:43], v[26:27], -v[42:43]
	v_add_f64 v[44:45], v[28:29], -v[44:45]
	;; [unrolled: 1-line block ×4, first 2 shown]
	v_mul_f64 v[64:65], v[124:125], v[64:65]
	v_fma_f64 v[8:9], v[8:9], s[6:7], v[66:67]
	v_fma_f64 v[66:67], v[173:174], v[128:129], v[48:49]
	v_add_f64 v[48:49], v[30:31], -v[54:55]
	v_fma_f64 v[76:77], v[124:125], v[62:63], v[78:79]
	v_mul_f64 v[78:79], v[158:159], v[114:115]
	v_mul_f64 v[80:81], v[156:157], v[114:115]
	v_fma_f64 v[6:7], v[82:83], 2.0, -v[22:23]
	v_fma_f64 v[16:17], v[92:93], 2.0, -v[20:21]
	s_waitcnt vmcnt(0) lgkmcnt(0)
	v_mul_f64 v[82:83], v[183:184], v[4:5]
	v_mul_f64 v[92:93], v[181:182], v[4:5]
	v_fma_f64 v[10:11], v[10:11], s[4:5], v[68:69]
	v_fma_f64 v[68:69], v[175:176], v[128:129], -v[56:57]
	v_fma_f64 v[54:55], v[70:71], 2.0, -v[38:39]
	v_fma_f64 v[56:57], v[72:73], 2.0, -v[40:41]
	;; [unrolled: 1-line block ×6, first 2 shown]
	v_add_f64 v[72:73], v[40:41], -v[48:49]
	v_fma_f64 v[34:35], v[34:35], 2.0, -v[52:53]
	v_fma_f64 v[36:37], v[36:37], 2.0, -v[46:47]
	v_fma_f64 v[62:63], v[126:127], v[62:63], -v[64:65]
	v_mul_f64 v[60:61], v[150:151], v[118:119]
	v_mul_f64 v[64:65], v[148:149], v[118:119]
	;; [unrolled: 1-line block ×4, first 2 shown]
	v_fma_f64 v[78:79], v[156:157], v[112:113], v[78:79]
	v_fma_f64 v[80:81], v[158:159], v[112:113], -v[80:81]
	v_add_f64 v[4:5], v[12:13], -v[6:7]
	v_add_f64 v[6:7], v[14:15], -v[16:17]
	v_fma_f64 v[82:83], v[181:182], v[2:3], v[82:83]
	v_fma_f64 v[2:3], v[183:184], v[2:3], -v[92:93]
	v_fma_f64 v[16:17], v[18:19], 2.0, -v[8:9]
	v_fma_f64 v[18:19], v[58:59], 2.0, -v[10:11]
	v_add_f64 v[70:71], v[38:39], v[50:51]
	v_add_f64 v[92:93], v[42:43], v[46:47]
	v_add_f64 v[102:103], v[44:45], -v[52:53]
	v_add_f64 v[58:59], v[54:55], -v[30:31]
	;; [unrolled: 1-line block ×3, first 2 shown]
	v_fma_f64 v[112:113], v[40:41], 2.0, -v[72:73]
	v_add_f64 v[46:47], v[26:27], -v[34:35]
	v_add_f64 v[40:41], v[28:29], -v[36:37]
	v_fma_f64 v[60:61], v[148:149], v[116:117], v[60:61]
	v_fma_f64 v[64:65], v[150:151], v[116:117], -v[64:65]
	v_fma_f64 v[84:85], v[164:165], v[132:133], v[84:85]
	v_fma_f64 v[86:87], v[166:167], v[132:133], -v[86:87]
	v_add_f64 v[22:23], v[74:75], -v[22:23]
	v_fma_f64 v[52:53], v[38:39], 2.0, -v[70:71]
	v_fma_f64 v[38:39], v[42:43], 2.0, -v[92:93]
	;; [unrolled: 1-line block ×3, first 2 shown]
	v_fma_f64 v[30:31], v[98:99], s[6:7], v[94:95]
	v_fma_f64 v[32:33], v[100:101], s[6:7], v[96:97]
	v_fma_f64 v[48:49], v[54:55], 2.0, -v[58:59]
	v_fma_f64 v[50:51], v[56:57], 2.0, -v[106:107]
	;; [unrolled: 1-line block ×5, first 2 shown]
	v_fma_f64 v[54:55], v[36:37], s[4:5], v[112:113]
	v_fma_f64 v[28:29], v[100:101], s[6:7], v[30:31]
	;; [unrolled: 1-line block ×3, first 2 shown]
	v_add_f64 v[40:41], v[58:59], v[40:41]
	v_add_f64 v[74:75], v[108:109], -v[78:79]
	v_add_f64 v[32:33], v[48:49], -v[34:35]
	v_add_f64 v[34:35], v[50:51], -v[42:43]
	v_add_f64 v[42:43], v[106:107], -v[46:47]
	v_add_f64 v[78:79], v[110:111], -v[80:81]
	v_add_f64 v[66:67], v[88:89], -v[66:67]
	v_add_f64 v[68:69], v[90:91], -v[68:69]
	v_add_f64 v[84:85], v[76:77], -v[84:85]
	v_add_f64 v[86:87], v[62:63], -v[86:87]
	v_add_f64 v[82:83], v[60:61], -v[82:83]
	v_add_f64 v[2:3], v[64:65], -v[2:3]
	v_fma_f64 v[44:45], v[38:39], s[4:5], v[52:53]
	v_fma_f64 v[38:39], v[38:39], s[4:5], v[54:55]
	v_fma_f64 v[46:47], v[96:97], 2.0, -v[30:31]
	v_fma_f64 v[56:57], v[58:59], 2.0, -v[40:41]
	;; [unrolled: 1-line block ×9, first 2 shown]
	v_add_f64 v[106:107], v[74:75], v[68:69]
	v_add_f64 v[108:109], v[78:79], -v[66:67]
	v_fma_f64 v[60:61], v[60:61], 2.0, -v[82:83]
	v_fma_f64 v[62:63], v[64:65], 2.0, -v[2:3]
	v_add_f64 v[2:3], v[84:85], v[2:3]
	v_add_f64 v[82:83], v[86:87], -v[82:83]
	v_fma_f64 v[36:37], v[36:37], s[6:7], v[44:45]
	v_fma_f64 v[44:45], v[94:95], 2.0, -v[28:29]
	v_fma_f64 v[54:55], v[112:113], 2.0, -v[38:39]
	v_fma_f64 v[80:81], v[92:93], s[6:7], v[70:71]
	v_fma_f64 v[94:95], v[102:103], s[6:7], v[72:73]
	v_add_f64 v[110:111], v[96:97], -v[88:89]
	v_add_f64 v[112:113], v[98:99], -v[90:91]
	v_fma_f64 v[88:89], v[74:75], 2.0, -v[106:107]
	v_fma_f64 v[90:91], v[78:79], 2.0, -v[108:109]
	v_add_f64 v[78:79], v[76:77], -v[60:61]
	v_add_f64 v[114:115], v[100:101], -v[62:63]
	v_fma_f64 v[74:75], v[84:85], 2.0, -v[2:3]
	v_fma_f64 v[84:85], v[86:87], 2.0, -v[82:83]
	v_fma_f64 v[60:61], v[102:103], s[6:7], v[80:81]
	v_fma_f64 v[62:63], v[92:93], s[4:5], v[94:95]
	v_fma_f64 v[86:87], v[96:97], 2.0, -v[110:111]
	v_fma_f64 v[92:93], v[98:99], 2.0, -v[112:113]
	;; [unrolled: 1-line block ×4, first 2 shown]
	v_fma_f64 v[80:81], v[74:75], s[4:5], v[88:89]
	v_fma_f64 v[94:95], v[84:85], s[4:5], v[90:91]
	;; [unrolled: 1-line block ×4, first 2 shown]
	v_add_f64 v[20:21], v[24:25], v[20:21]
	v_fma_f64 v[12:13], v[12:13], 2.0, -v[4:5]
	v_fma_f64 v[14:15], v[14:15], 2.0, -v[6:7]
	;; [unrolled: 1-line block ×4, first 2 shown]
	v_add_f64 v[68:69], v[86:87], -v[68:69]
	v_add_f64 v[70:71], v[92:93], -v[76:77]
	v_fma_f64 v[72:73], v[84:85], s[6:7], v[80:81]
	v_fma_f64 v[74:75], v[74:75], s[4:5], v[94:95]
	v_add_f64 v[76:77], v[110:111], v[114:115]
	v_add_f64 v[78:79], v[112:113], -v[78:79]
	v_fma_f64 v[80:81], v[82:83], s[6:7], v[96:97]
	v_fma_f64 v[82:83], v[2:3], s[4:5], v[98:99]
	v_fma_f64 v[24:25], v[24:25], 2.0, -v[20:21]
	v_fma_f64 v[48:49], v[48:49], 2.0, -v[32:33]
	;; [unrolled: 1-line block ×12, first 2 shown]
	s_waitcnt lgkmcnt(0)
	; wave barrier
	ds_write_b128 v105, v[12:15]
	ds_write_b128 v105, v[16:19] offset:816
	ds_write_b128 v105, v[24:27] offset:1632
	;; [unrolled: 1-line block ×23, first 2 shown]
	s_waitcnt lgkmcnt(0)
	; wave barrier
	s_waitcnt lgkmcnt(0)
	s_and_saveexec_b64 s[4:5], s[0:1]
	s_cbranch_execz .LBB0_20
; %bb.19:
	v_lshl_add_u32 v12, v104, 4, v172
	ds_read_b128 v[2:5], v12
	buffer_load_dword v6, off, s[60:63], 0  ; 4-byte Folded Reload
	buffer_load_dword v7, off, s[60:63], 0 offset:4 ; 4-byte Folded Reload
	v_mov_b32_e32 v105, v1
	v_mov_b32_e32 v0, s3
	s_waitcnt vmcnt(1)
	v_add_co_u32_e32 v13, vcc, s2, v6
	s_waitcnt vmcnt(0)
	v_addc_co_u32_e32 v14, vcc, v0, v7, vcc
	v_lshlrev_b64 v[6:7], 4, v[104:105]
	v_add_u32_e32 v0, 17, v104
	v_add_co_u32_e32 v10, vcc, v13, v6
	v_addc_co_u32_e32 v11, vcc, v14, v7, vcc
	ds_read_b128 v[6:9], v12 offset:272
	s_waitcnt lgkmcnt(1)
	global_store_dwordx4 v[10:11], v[2:5], off
	s_nop 0
	v_lshlrev_b64 v[2:3], 4, v[0:1]
	v_add_u32_e32 v0, 34, v104
	v_add_co_u32_e32 v2, vcc, v13, v2
	v_addc_co_u32_e32 v3, vcc, v14, v3, vcc
	s_waitcnt lgkmcnt(0)
	global_store_dwordx4 v[2:3], v[6:9], off
	ds_read_b128 v[2:5], v12 offset:544
	v_lshlrev_b64 v[6:7], 4, v[0:1]
	v_add_u32_e32 v0, 51, v104
	v_add_co_u32_e32 v10, vcc, v13, v6
	v_addc_co_u32_e32 v11, vcc, v14, v7, vcc
	ds_read_b128 v[6:9], v12 offset:816
	s_waitcnt lgkmcnt(1)
	global_store_dwordx4 v[10:11], v[2:5], off
	s_nop 0
	v_lshlrev_b64 v[2:3], 4, v[0:1]
	v_add_u32_e32 v0, 0x44, v104
	v_add_co_u32_e32 v2, vcc, v13, v2
	v_addc_co_u32_e32 v3, vcc, v14, v3, vcc
	s_waitcnt lgkmcnt(0)
	global_store_dwordx4 v[2:3], v[6:9], off
	ds_read_b128 v[2:5], v12 offset:1088
	v_lshlrev_b64 v[6:7], 4, v[0:1]
	v_add_u32_e32 v0, 0x55, v104
	v_add_co_u32_e32 v10, vcc, v13, v6
	v_addc_co_u32_e32 v11, vcc, v14, v7, vcc
	ds_read_b128 v[6:9], v12 offset:1360
	s_waitcnt lgkmcnt(1)
	global_store_dwordx4 v[10:11], v[2:5], off
	s_nop 0
	v_lshlrev_b64 v[2:3], 4, v[0:1]
	v_add_u32_e32 v0, 0x66, v104
	v_add_co_u32_e32 v2, vcc, v13, v2
	v_addc_co_u32_e32 v3, vcc, v14, v3, vcc
	s_waitcnt lgkmcnt(0)
	global_store_dwordx4 v[2:3], v[6:9], off
	ds_read_b128 v[2:5], v12 offset:1632
	v_lshlrev_b64 v[6:7], 4, v[0:1]
	v_add_u32_e32 v0, 0x77, v104
	v_add_co_u32_e32 v10, vcc, v13, v6
	v_addc_co_u32_e32 v11, vcc, v14, v7, vcc
	ds_read_b128 v[6:9], v12 offset:1904
	s_waitcnt lgkmcnt(1)
	global_store_dwordx4 v[10:11], v[2:5], off
	s_nop 0
	v_lshlrev_b64 v[2:3], 4, v[0:1]
	v_add_u32_e32 v0, 0x88, v104
	v_add_co_u32_e32 v2, vcc, v13, v2
	v_addc_co_u32_e32 v3, vcc, v14, v3, vcc
	s_waitcnt lgkmcnt(0)
	global_store_dwordx4 v[2:3], v[6:9], off
	ds_read_b128 v[2:5], v12 offset:2176
	v_lshlrev_b64 v[6:7], 4, v[0:1]
	v_add_u32_e32 v0, 0x99, v104
	v_add_co_u32_e32 v10, vcc, v13, v6
	v_addc_co_u32_e32 v11, vcc, v14, v7, vcc
	ds_read_b128 v[6:9], v12 offset:2448
	s_waitcnt lgkmcnt(1)
	global_store_dwordx4 v[10:11], v[2:5], off
	s_nop 0
	v_lshlrev_b64 v[2:3], 4, v[0:1]
	v_add_u32_e32 v0, 0xaa, v104
	v_add_co_u32_e32 v2, vcc, v13, v2
	v_addc_co_u32_e32 v3, vcc, v14, v3, vcc
	s_waitcnt lgkmcnt(0)
	global_store_dwordx4 v[2:3], v[6:9], off
	ds_read_b128 v[2:5], v12 offset:2720
	v_lshlrev_b64 v[6:7], 4, v[0:1]
	v_add_u32_e32 v0, 0xbb, v104
	v_add_co_u32_e32 v10, vcc, v13, v6
	v_addc_co_u32_e32 v11, vcc, v14, v7, vcc
	ds_read_b128 v[6:9], v12 offset:2992
	s_waitcnt lgkmcnt(1)
	global_store_dwordx4 v[10:11], v[2:5], off
	s_nop 0
	v_lshlrev_b64 v[2:3], 4, v[0:1]
	v_add_u32_e32 v0, 0xcc, v104
	v_add_co_u32_e32 v2, vcc, v13, v2
	v_addc_co_u32_e32 v3, vcc, v14, v3, vcc
	s_waitcnt lgkmcnt(0)
	global_store_dwordx4 v[2:3], v[6:9], off
	ds_read_b128 v[2:5], v12 offset:3264
	v_lshlrev_b64 v[6:7], 4, v[0:1]
	v_add_u32_e32 v0, 0xdd, v104
	v_add_co_u32_e32 v10, vcc, v13, v6
	v_addc_co_u32_e32 v11, vcc, v14, v7, vcc
	ds_read_b128 v[6:9], v12 offset:3536
	s_waitcnt lgkmcnt(1)
	global_store_dwordx4 v[10:11], v[2:5], off
	s_nop 0
	v_lshlrev_b64 v[2:3], 4, v[0:1]
	v_add_u32_e32 v0, 0xee, v104
	v_add_co_u32_e32 v2, vcc, v13, v2
	v_addc_co_u32_e32 v3, vcc, v14, v3, vcc
	s_waitcnt lgkmcnt(0)
	global_store_dwordx4 v[2:3], v[6:9], off
	ds_read_b128 v[2:5], v12 offset:3808
	v_lshlrev_b64 v[6:7], 4, v[0:1]
	v_add_u32_e32 v0, 0xff, v104
	v_add_co_u32_e32 v10, vcc, v13, v6
	v_addc_co_u32_e32 v11, vcc, v14, v7, vcc
	ds_read_b128 v[6:9], v12 offset:4080
	s_waitcnt lgkmcnt(1)
	global_store_dwordx4 v[10:11], v[2:5], off
	s_nop 0
	v_lshlrev_b64 v[2:3], 4, v[0:1]
	v_add_u32_e32 v0, 0x110, v104
	v_add_co_u32_e32 v2, vcc, v13, v2
	v_addc_co_u32_e32 v3, vcc, v14, v3, vcc
	s_waitcnt lgkmcnt(0)
	global_store_dwordx4 v[2:3], v[6:9], off
	ds_read_b128 v[2:5], v12 offset:4352
	v_lshlrev_b64 v[6:7], 4, v[0:1]
	v_add_u32_e32 v0, 0x121, v104
	v_add_co_u32_e32 v10, vcc, v13, v6
	v_addc_co_u32_e32 v11, vcc, v14, v7, vcc
	ds_read_b128 v[6:9], v12 offset:4624
	s_waitcnt lgkmcnt(1)
	global_store_dwordx4 v[10:11], v[2:5], off
	s_nop 0
	v_lshlrev_b64 v[2:3], 4, v[0:1]
	v_add_u32_e32 v0, 0x132, v104
	v_add_co_u32_e32 v2, vcc, v13, v2
	v_addc_co_u32_e32 v3, vcc, v14, v3, vcc
	s_waitcnt lgkmcnt(0)
	global_store_dwordx4 v[2:3], v[6:9], off
	ds_read_b128 v[2:5], v12 offset:4896
	v_lshlrev_b64 v[6:7], 4, v[0:1]
	v_add_u32_e32 v0, 0x143, v104
	v_add_co_u32_e32 v10, vcc, v13, v6
	v_addc_co_u32_e32 v11, vcc, v14, v7, vcc
	ds_read_b128 v[6:9], v12 offset:5168
	s_waitcnt lgkmcnt(1)
	global_store_dwordx4 v[10:11], v[2:5], off
	s_nop 0
	v_lshlrev_b64 v[2:3], 4, v[0:1]
	v_add_u32_e32 v0, 0x154, v104
	v_add_co_u32_e32 v2, vcc, v13, v2
	v_addc_co_u32_e32 v3, vcc, v14, v3, vcc
	s_waitcnt lgkmcnt(0)
	global_store_dwordx4 v[2:3], v[6:9], off
	ds_read_b128 v[2:5], v12 offset:5440
	v_lshlrev_b64 v[6:7], 4, v[0:1]
	v_add_u32_e32 v0, 0x165, v104
	v_add_co_u32_e32 v10, vcc, v13, v6
	v_addc_co_u32_e32 v11, vcc, v14, v7, vcc
	ds_read_b128 v[6:9], v12 offset:5712
	s_waitcnt lgkmcnt(1)
	global_store_dwordx4 v[10:11], v[2:5], off
	s_nop 0
	v_lshlrev_b64 v[2:3], 4, v[0:1]
	v_add_u32_e32 v0, 0x176, v104
	v_add_co_u32_e32 v2, vcc, v13, v2
	v_addc_co_u32_e32 v3, vcc, v14, v3, vcc
	s_waitcnt lgkmcnt(0)
	global_store_dwordx4 v[2:3], v[6:9], off
	ds_read_b128 v[2:5], v12 offset:5984
	v_lshlrev_b64 v[6:7], 4, v[0:1]
	v_add_u32_e32 v0, 0x187, v104
	v_add_co_u32_e32 v10, vcc, v13, v6
	v_addc_co_u32_e32 v11, vcc, v14, v7, vcc
	ds_read_b128 v[6:9], v12 offset:6256
	v_lshlrev_b64 v[0:1], 4, v[0:1]
	s_waitcnt lgkmcnt(1)
	global_store_dwordx4 v[10:11], v[2:5], off
	v_add_co_u32_e32 v0, vcc, v13, v0
	v_addc_co_u32_e32 v1, vcc, v14, v1, vcc
	s_waitcnt lgkmcnt(0)
	global_store_dwordx4 v[0:1], v[6:9], off
.LBB0_20:
	s_endpgm
	.section	.rodata,"a",@progbits
	.p2align	6, 0x0
	.amdhsa_kernel fft_rtc_back_len408_factors_17_3_8_wgs_51_tpt_17_halfLds_dp_ip_CI_unitstride_sbrr_C2R_dirReg
		.amdhsa_group_segment_fixed_size 0
		.amdhsa_private_segment_fixed_size 44
		.amdhsa_kernarg_size 88
		.amdhsa_user_sgpr_count 6
		.amdhsa_user_sgpr_private_segment_buffer 1
		.amdhsa_user_sgpr_dispatch_ptr 0
		.amdhsa_user_sgpr_queue_ptr 0
		.amdhsa_user_sgpr_kernarg_segment_ptr 1
		.amdhsa_user_sgpr_dispatch_id 0
		.amdhsa_user_sgpr_flat_scratch_init 0
		.amdhsa_user_sgpr_private_segment_size 0
		.amdhsa_uses_dynamic_stack 0
		.amdhsa_system_sgpr_private_segment_wavefront_offset 1
		.amdhsa_system_sgpr_workgroup_id_x 1
		.amdhsa_system_sgpr_workgroup_id_y 0
		.amdhsa_system_sgpr_workgroup_id_z 0
		.amdhsa_system_sgpr_workgroup_info 0
		.amdhsa_system_vgpr_workitem_id 0
		.amdhsa_next_free_vgpr 255
		.amdhsa_next_free_sgpr 64
		.amdhsa_reserve_vcc 1
		.amdhsa_reserve_flat_scratch 0
		.amdhsa_float_round_mode_32 0
		.amdhsa_float_round_mode_16_64 0
		.amdhsa_float_denorm_mode_32 3
		.amdhsa_float_denorm_mode_16_64 3
		.amdhsa_dx10_clamp 1
		.amdhsa_ieee_mode 1
		.amdhsa_fp16_overflow 0
		.amdhsa_exception_fp_ieee_invalid_op 0
		.amdhsa_exception_fp_denorm_src 0
		.amdhsa_exception_fp_ieee_div_zero 0
		.amdhsa_exception_fp_ieee_overflow 0
		.amdhsa_exception_fp_ieee_underflow 0
		.amdhsa_exception_fp_ieee_inexact 0
		.amdhsa_exception_int_div_zero 0
	.end_amdhsa_kernel
	.text
.Lfunc_end0:
	.size	fft_rtc_back_len408_factors_17_3_8_wgs_51_tpt_17_halfLds_dp_ip_CI_unitstride_sbrr_C2R_dirReg, .Lfunc_end0-fft_rtc_back_len408_factors_17_3_8_wgs_51_tpt_17_halfLds_dp_ip_CI_unitstride_sbrr_C2R_dirReg
                                        ; -- End function
	.section	.AMDGPU.csdata,"",@progbits
; Kernel info:
; codeLenInByte = 22276
; NumSgprs: 68
; NumVgprs: 255
; ScratchSize: 44
; MemoryBound: 0
; FloatMode: 240
; IeeeMode: 1
; LDSByteSize: 0 bytes/workgroup (compile time only)
; SGPRBlocks: 8
; VGPRBlocks: 63
; NumSGPRsForWavesPerEU: 68
; NumVGPRsForWavesPerEU: 255
; Occupancy: 1
; WaveLimiterHint : 1
; COMPUTE_PGM_RSRC2:SCRATCH_EN: 1
; COMPUTE_PGM_RSRC2:USER_SGPR: 6
; COMPUTE_PGM_RSRC2:TRAP_HANDLER: 0
; COMPUTE_PGM_RSRC2:TGID_X_EN: 1
; COMPUTE_PGM_RSRC2:TGID_Y_EN: 0
; COMPUTE_PGM_RSRC2:TGID_Z_EN: 0
; COMPUTE_PGM_RSRC2:TIDIG_COMP_CNT: 0
	.type	__hip_cuid_6e47457802d17eeb,@object ; @__hip_cuid_6e47457802d17eeb
	.section	.bss,"aw",@nobits
	.globl	__hip_cuid_6e47457802d17eeb
__hip_cuid_6e47457802d17eeb:
	.byte	0                               ; 0x0
	.size	__hip_cuid_6e47457802d17eeb, 1

	.ident	"AMD clang version 19.0.0git (https://github.com/RadeonOpenCompute/llvm-project roc-6.4.0 25133 c7fe45cf4b819c5991fe208aaa96edf142730f1d)"
	.section	".note.GNU-stack","",@progbits
	.addrsig
	.addrsig_sym __hip_cuid_6e47457802d17eeb
	.amdgpu_metadata
---
amdhsa.kernels:
  - .args:
      - .actual_access:  read_only
        .address_space:  global
        .offset:         0
        .size:           8
        .value_kind:     global_buffer
      - .offset:         8
        .size:           8
        .value_kind:     by_value
      - .actual_access:  read_only
        .address_space:  global
        .offset:         16
        .size:           8
        .value_kind:     global_buffer
      - .actual_access:  read_only
        .address_space:  global
        .offset:         24
        .size:           8
        .value_kind:     global_buffer
      - .offset:         32
        .size:           8
        .value_kind:     by_value
      - .actual_access:  read_only
        .address_space:  global
        .offset:         40
        .size:           8
        .value_kind:     global_buffer
      - .actual_access:  read_only
        .address_space:  global
        .offset:         48
        .size:           8
        .value_kind:     global_buffer
      - .offset:         56
        .size:           4
        .value_kind:     by_value
      - .actual_access:  read_only
        .address_space:  global
        .offset:         64
        .size:           8
        .value_kind:     global_buffer
      - .actual_access:  read_only
        .address_space:  global
        .offset:         72
        .size:           8
        .value_kind:     global_buffer
      - .address_space:  global
        .offset:         80
        .size:           8
        .value_kind:     global_buffer
    .group_segment_fixed_size: 0
    .kernarg_segment_align: 8
    .kernarg_segment_size: 88
    .language:       OpenCL C
    .language_version:
      - 2
      - 0
    .max_flat_workgroup_size: 51
    .name:           fft_rtc_back_len408_factors_17_3_8_wgs_51_tpt_17_halfLds_dp_ip_CI_unitstride_sbrr_C2R_dirReg
    .private_segment_fixed_size: 44
    .sgpr_count:     68
    .sgpr_spill_count: 0
    .symbol:         fft_rtc_back_len408_factors_17_3_8_wgs_51_tpt_17_halfLds_dp_ip_CI_unitstride_sbrr_C2R_dirReg.kd
    .uniform_work_group_size: 1
    .uses_dynamic_stack: false
    .vgpr_count:     255
    .vgpr_spill_count: 10
    .wavefront_size: 64
amdhsa.target:   amdgcn-amd-amdhsa--gfx906
amdhsa.version:
  - 1
  - 2
...

	.end_amdgpu_metadata
